;; amdgpu-corpus repo=ROCm/rocFFT kind=compiled arch=gfx1201 opt=O3
	.text
	.amdgcn_target "amdgcn-amd-amdhsa--gfx1201"
	.amdhsa_code_object_version 6
	.protected	fft_rtc_back_len3000_factors_10_3_10_10_wgs_100_tpt_100_halfLds_half_ip_CI_sbrr_dirReg ; -- Begin function fft_rtc_back_len3000_factors_10_3_10_10_wgs_100_tpt_100_halfLds_half_ip_CI_sbrr_dirReg
	.globl	fft_rtc_back_len3000_factors_10_3_10_10_wgs_100_tpt_100_halfLds_half_ip_CI_sbrr_dirReg
	.p2align	8
	.type	fft_rtc_back_len3000_factors_10_3_10_10_wgs_100_tpt_100_halfLds_half_ip_CI_sbrr_dirReg,@function
fft_rtc_back_len3000_factors_10_3_10_10_wgs_100_tpt_100_halfLds_half_ip_CI_sbrr_dirReg: ; @fft_rtc_back_len3000_factors_10_3_10_10_wgs_100_tpt_100_halfLds_half_ip_CI_sbrr_dirReg
; %bb.0:
	s_clause 0x2
	s_load_b64 s[12:13], s[0:1], 0x18
	s_load_b128 s[4:7], s[0:1], 0x0
	s_load_b64 s[10:11], s[0:1], 0x50
	v_mul_u32_u24_e32 v1, 0x290, v0
	v_mov_b32_e32 v3, 0
	s_delay_alu instid0(VALU_DEP_2) | instskip(NEXT) | instid1(VALU_DEP_1)
	v_lshrrev_b32_e32 v1, 16, v1
	v_add_nc_u32_e32 v5, ttmp9, v1
	v_mov_b32_e32 v1, 0
	v_mov_b32_e32 v2, 0
	;; [unrolled: 1-line block ×3, first 2 shown]
	s_wait_kmcnt 0x0
	s_load_b64 s[8:9], s[12:13], 0x0
	v_cmp_lt_u64_e64 s2, s[6:7], 2
	s_delay_alu instid0(VALU_DEP_1)
	s_and_b32 vcc_lo, exec_lo, s2
	s_cbranch_vccnz .LBB0_8
; %bb.1:
	s_load_b64 s[2:3], s[0:1], 0x10
	v_mov_b32_e32 v1, 0
	v_mov_b32_e32 v2, 0
	s_add_nc_u64 s[14:15], s[12:13], 8
	s_mov_b64 s[16:17], 1
	s_wait_kmcnt 0x0
	s_add_nc_u64 s[18:19], s[2:3], 8
	s_mov_b32 s3, 0
.LBB0_2:                                ; =>This Inner Loop Header: Depth=1
	s_load_b64 s[20:21], s[18:19], 0x0
                                        ; implicit-def: $vgpr7_vgpr8
	s_mov_b32 s2, exec_lo
	s_wait_kmcnt 0x0
	v_or_b32_e32 v4, s21, v6
	s_delay_alu instid0(VALU_DEP_1)
	v_cmpx_ne_u64_e32 0, v[3:4]
	s_wait_alu 0xfffe
	s_xor_b32 s22, exec_lo, s2
	s_cbranch_execz .LBB0_4
; %bb.3:                                ;   in Loop: Header=BB0_2 Depth=1
	s_cvt_f32_u32 s2, s20
	s_cvt_f32_u32 s23, s21
	s_sub_nc_u64 s[26:27], 0, s[20:21]
	s_wait_alu 0xfffe
	s_delay_alu instid0(SALU_CYCLE_1) | instskip(SKIP_1) | instid1(SALU_CYCLE_2)
	s_fmamk_f32 s2, s23, 0x4f800000, s2
	s_wait_alu 0xfffe
	v_s_rcp_f32 s2, s2
	s_delay_alu instid0(TRANS32_DEP_1) | instskip(SKIP_1) | instid1(SALU_CYCLE_2)
	s_mul_f32 s2, s2, 0x5f7ffffc
	s_wait_alu 0xfffe
	s_mul_f32 s23, s2, 0x2f800000
	s_wait_alu 0xfffe
	s_delay_alu instid0(SALU_CYCLE_2) | instskip(SKIP_1) | instid1(SALU_CYCLE_2)
	s_trunc_f32 s23, s23
	s_wait_alu 0xfffe
	s_fmamk_f32 s2, s23, 0xcf800000, s2
	s_cvt_u32_f32 s25, s23
	s_wait_alu 0xfffe
	s_delay_alu instid0(SALU_CYCLE_1) | instskip(SKIP_1) | instid1(SALU_CYCLE_2)
	s_cvt_u32_f32 s24, s2
	s_wait_alu 0xfffe
	s_mul_u64 s[28:29], s[26:27], s[24:25]
	s_wait_alu 0xfffe
	s_mul_hi_u32 s31, s24, s29
	s_mul_i32 s30, s24, s29
	s_mul_hi_u32 s2, s24, s28
	s_mul_i32 s33, s25, s28
	s_wait_alu 0xfffe
	s_add_nc_u64 s[30:31], s[2:3], s[30:31]
	s_mul_hi_u32 s23, s25, s28
	s_mul_hi_u32 s34, s25, s29
	s_add_co_u32 s2, s30, s33
	s_wait_alu 0xfffe
	s_add_co_ci_u32 s2, s31, s23
	s_mul_i32 s28, s25, s29
	s_add_co_ci_u32 s29, s34, 0
	s_wait_alu 0xfffe
	s_add_nc_u64 s[28:29], s[2:3], s[28:29]
	s_wait_alu 0xfffe
	v_add_co_u32 v4, s2, s24, s28
	s_delay_alu instid0(VALU_DEP_1) | instskip(SKIP_1) | instid1(VALU_DEP_1)
	s_cmp_lg_u32 s2, 0
	s_add_co_ci_u32 s25, s25, s29
	v_readfirstlane_b32 s24, v4
	s_wait_alu 0xfffe
	s_delay_alu instid0(VALU_DEP_1)
	s_mul_u64 s[26:27], s[26:27], s[24:25]
	s_wait_alu 0xfffe
	s_mul_hi_u32 s29, s24, s27
	s_mul_i32 s28, s24, s27
	s_mul_hi_u32 s2, s24, s26
	s_mul_i32 s30, s25, s26
	s_wait_alu 0xfffe
	s_add_nc_u64 s[28:29], s[2:3], s[28:29]
	s_mul_hi_u32 s23, s25, s26
	s_mul_hi_u32 s24, s25, s27
	s_wait_alu 0xfffe
	s_add_co_u32 s2, s28, s30
	s_add_co_ci_u32 s2, s29, s23
	s_mul_i32 s26, s25, s27
	s_add_co_ci_u32 s27, s24, 0
	s_wait_alu 0xfffe
	s_add_nc_u64 s[26:27], s[2:3], s[26:27]
	s_wait_alu 0xfffe
	v_add_co_u32 v4, s2, v4, s26
	s_delay_alu instid0(VALU_DEP_1) | instskip(SKIP_1) | instid1(VALU_DEP_1)
	s_cmp_lg_u32 s2, 0
	s_add_co_ci_u32 s2, s25, s27
	v_mul_hi_u32 v13, v5, v4
	s_wait_alu 0xfffe
	v_mad_co_u64_u32 v[7:8], null, v5, s2, 0
	v_mad_co_u64_u32 v[9:10], null, v6, v4, 0
	;; [unrolled: 1-line block ×3, first 2 shown]
	s_delay_alu instid0(VALU_DEP_3) | instskip(SKIP_1) | instid1(VALU_DEP_4)
	v_add_co_u32 v4, vcc_lo, v13, v7
	s_wait_alu 0xfffd
	v_add_co_ci_u32_e32 v7, vcc_lo, 0, v8, vcc_lo
	s_delay_alu instid0(VALU_DEP_2) | instskip(SKIP_1) | instid1(VALU_DEP_2)
	v_add_co_u32 v4, vcc_lo, v4, v9
	s_wait_alu 0xfffd
	v_add_co_ci_u32_e32 v4, vcc_lo, v7, v10, vcc_lo
	s_wait_alu 0xfffd
	v_add_co_ci_u32_e32 v7, vcc_lo, 0, v12, vcc_lo
	s_delay_alu instid0(VALU_DEP_2) | instskip(SKIP_1) | instid1(VALU_DEP_2)
	v_add_co_u32 v4, vcc_lo, v4, v11
	s_wait_alu 0xfffd
	v_add_co_ci_u32_e32 v9, vcc_lo, 0, v7, vcc_lo
	s_delay_alu instid0(VALU_DEP_2) | instskip(SKIP_1) | instid1(VALU_DEP_3)
	v_mul_lo_u32 v10, s21, v4
	v_mad_co_u64_u32 v[7:8], null, s20, v4, 0
	v_mul_lo_u32 v11, s20, v9
	s_delay_alu instid0(VALU_DEP_2) | instskip(NEXT) | instid1(VALU_DEP_2)
	v_sub_co_u32 v7, vcc_lo, v5, v7
	v_add3_u32 v8, v8, v11, v10
	s_delay_alu instid0(VALU_DEP_1) | instskip(SKIP_1) | instid1(VALU_DEP_1)
	v_sub_nc_u32_e32 v10, v6, v8
	s_wait_alu 0xfffd
	v_subrev_co_ci_u32_e64 v10, s2, s21, v10, vcc_lo
	v_add_co_u32 v11, s2, v4, 2
	s_wait_alu 0xf1ff
	v_add_co_ci_u32_e64 v12, s2, 0, v9, s2
	v_sub_co_u32 v13, s2, v7, s20
	v_sub_co_ci_u32_e32 v8, vcc_lo, v6, v8, vcc_lo
	s_wait_alu 0xf1ff
	v_subrev_co_ci_u32_e64 v10, s2, 0, v10, s2
	s_delay_alu instid0(VALU_DEP_3) | instskip(NEXT) | instid1(VALU_DEP_3)
	v_cmp_le_u32_e32 vcc_lo, s20, v13
	v_cmp_eq_u32_e64 s2, s21, v8
	s_wait_alu 0xfffd
	v_cndmask_b32_e64 v13, 0, -1, vcc_lo
	v_cmp_le_u32_e32 vcc_lo, s21, v10
	s_wait_alu 0xfffd
	v_cndmask_b32_e64 v14, 0, -1, vcc_lo
	v_cmp_le_u32_e32 vcc_lo, s20, v7
	;; [unrolled: 3-line block ×3, first 2 shown]
	s_wait_alu 0xfffd
	v_cndmask_b32_e64 v15, 0, -1, vcc_lo
	v_cmp_eq_u32_e32 vcc_lo, s21, v10
	s_wait_alu 0xf1ff
	s_delay_alu instid0(VALU_DEP_2)
	v_cndmask_b32_e64 v7, v15, v7, s2
	s_wait_alu 0xfffd
	v_cndmask_b32_e32 v10, v14, v13, vcc_lo
	v_add_co_u32 v13, vcc_lo, v4, 1
	s_wait_alu 0xfffd
	v_add_co_ci_u32_e32 v14, vcc_lo, 0, v9, vcc_lo
	s_delay_alu instid0(VALU_DEP_3) | instskip(SKIP_2) | instid1(VALU_DEP_3)
	v_cmp_ne_u32_e32 vcc_lo, 0, v10
	s_wait_alu 0xfffd
	v_cndmask_b32_e32 v10, v13, v11, vcc_lo
	v_cndmask_b32_e32 v8, v14, v12, vcc_lo
	v_cmp_ne_u32_e32 vcc_lo, 0, v7
	s_wait_alu 0xfffd
	s_delay_alu instid0(VALU_DEP_2)
	v_dual_cndmask_b32 v7, v4, v10 :: v_dual_cndmask_b32 v8, v9, v8
.LBB0_4:                                ;   in Loop: Header=BB0_2 Depth=1
	s_wait_alu 0xfffe
	s_and_not1_saveexec_b32 s2, s22
	s_cbranch_execz .LBB0_6
; %bb.5:                                ;   in Loop: Header=BB0_2 Depth=1
	v_cvt_f32_u32_e32 v4, s20
	s_sub_co_i32 s22, 0, s20
	s_delay_alu instid0(VALU_DEP_1) | instskip(NEXT) | instid1(TRANS32_DEP_1)
	v_rcp_iflag_f32_e32 v4, v4
	v_mul_f32_e32 v4, 0x4f7ffffe, v4
	s_delay_alu instid0(VALU_DEP_1) | instskip(SKIP_1) | instid1(VALU_DEP_1)
	v_cvt_u32_f32_e32 v4, v4
	s_wait_alu 0xfffe
	v_mul_lo_u32 v7, s22, v4
	s_delay_alu instid0(VALU_DEP_1) | instskip(NEXT) | instid1(VALU_DEP_1)
	v_mul_hi_u32 v7, v4, v7
	v_add_nc_u32_e32 v4, v4, v7
	s_delay_alu instid0(VALU_DEP_1) | instskip(NEXT) | instid1(VALU_DEP_1)
	v_mul_hi_u32 v4, v5, v4
	v_mul_lo_u32 v7, v4, s20
	v_add_nc_u32_e32 v8, 1, v4
	s_delay_alu instid0(VALU_DEP_2) | instskip(NEXT) | instid1(VALU_DEP_1)
	v_sub_nc_u32_e32 v7, v5, v7
	v_subrev_nc_u32_e32 v9, s20, v7
	v_cmp_le_u32_e32 vcc_lo, s20, v7
	s_wait_alu 0xfffd
	s_delay_alu instid0(VALU_DEP_2) | instskip(NEXT) | instid1(VALU_DEP_1)
	v_dual_cndmask_b32 v7, v7, v9 :: v_dual_cndmask_b32 v4, v4, v8
	v_cmp_le_u32_e32 vcc_lo, s20, v7
	s_delay_alu instid0(VALU_DEP_2) | instskip(SKIP_1) | instid1(VALU_DEP_1)
	v_add_nc_u32_e32 v8, 1, v4
	s_wait_alu 0xfffd
	v_dual_cndmask_b32 v7, v4, v8 :: v_dual_mov_b32 v8, v3
.LBB0_6:                                ;   in Loop: Header=BB0_2 Depth=1
	s_wait_alu 0xfffe
	s_or_b32 exec_lo, exec_lo, s2
	s_load_b64 s[22:23], s[14:15], 0x0
	s_delay_alu instid0(VALU_DEP_1)
	v_mul_lo_u32 v4, v8, s20
	v_mul_lo_u32 v11, v7, s21
	v_mad_co_u64_u32 v[9:10], null, v7, s20, 0
	s_add_nc_u64 s[16:17], s[16:17], 1
	s_add_nc_u64 s[14:15], s[14:15], 8
	s_wait_alu 0xfffe
	v_cmp_ge_u64_e64 s2, s[16:17], s[6:7]
	s_add_nc_u64 s[18:19], s[18:19], 8
	s_delay_alu instid0(VALU_DEP_2) | instskip(NEXT) | instid1(VALU_DEP_3)
	v_add3_u32 v4, v10, v11, v4
	v_sub_co_u32 v5, vcc_lo, v5, v9
	s_wait_alu 0xfffd
	s_delay_alu instid0(VALU_DEP_2) | instskip(SKIP_3) | instid1(VALU_DEP_2)
	v_sub_co_ci_u32_e32 v4, vcc_lo, v6, v4, vcc_lo
	s_and_b32 vcc_lo, exec_lo, s2
	s_wait_kmcnt 0x0
	v_mul_lo_u32 v6, s23, v5
	v_mul_lo_u32 v4, s22, v4
	v_mad_co_u64_u32 v[1:2], null, s22, v5, v[1:2]
	s_delay_alu instid0(VALU_DEP_1)
	v_add3_u32 v2, v6, v2, v4
	s_wait_alu 0xfffe
	s_cbranch_vccnz .LBB0_9
; %bb.7:                                ;   in Loop: Header=BB0_2 Depth=1
	v_dual_mov_b32 v5, v7 :: v_dual_mov_b32 v6, v8
	s_branch .LBB0_2
.LBB0_8:
	v_dual_mov_b32 v8, v6 :: v_dual_mov_b32 v7, v5
.LBB0_9:
	s_lshl_b64 s[2:3], s[6:7], 3
	v_mul_hi_u32 v3, 0x28f5c29, v0
	s_wait_alu 0xfffe
	s_add_nc_u64 s[2:3], s[12:13], s[2:3]
	s_load_b64 s[0:1], s[0:1], 0x20
	s_load_b64 s[2:3], s[2:3], 0x0
                                        ; implicit-def: $vgpr48
                                        ; implicit-def: $vgpr47
                                        ; implicit-def: $vgpr6
	s_delay_alu instid0(VALU_DEP_1) | instskip(NEXT) | instid1(VALU_DEP_1)
	v_mul_u32_u24_e32 v3, 0x64, v3
	v_sub_nc_u32_e32 v46, v0, v3
	s_delay_alu instid0(VALU_DEP_1)
	v_add_nc_u32_e32 v34, 0x64, v46
	v_add_nc_u32_e32 v26, 0xc8, v46
	;; [unrolled: 1-line block ×4, first 2 shown]
	s_wait_kmcnt 0x0
	v_cmp_gt_u64_e32 vcc_lo, s[0:1], v[7:8]
	v_mul_lo_u32 v4, s2, v8
	v_mul_lo_u32 v5, s3, v7
	v_mad_co_u64_u32 v[0:1], null, s2, v7, v[1:2]
	v_cmp_le_u64_e64 s0, s[0:1], v[7:8]
	v_add_nc_u32_e32 v3, 0x1f4, v46
	v_add_nc_u32_e32 v42, 0x258, v46
	v_add_nc_u32_e32 v31, 0x2bc, v46
	v_add_nc_u32_e32 v2, 0x320, v46
	v_add_nc_u32_e32 v40, 0x384, v46
	v_add3_u32 v1, v5, v1, v4
                                        ; implicit-def: $vgpr8
                                        ; implicit-def: $vgpr7
                                        ; implicit-def: $vgpr5
                                        ; implicit-def: $vgpr4
	s_and_saveexec_b32 s1, s0
	s_wait_alu 0xfffe
	s_xor_b32 s0, exec_lo, s1
; %bb.10:
	v_add_nc_u32_e32 v48, 0x64, v46
	v_add_nc_u32_e32 v47, 0xc8, v46
	;; [unrolled: 1-line block ×9, first 2 shown]
; %bb.11:
	s_wait_alu 0xfffe
	s_or_saveexec_b32 s1, s0
	v_lshlrev_b64_e32 v[24:25], 2, v[0:1]
	v_add_nc_u32_e32 v45, 0x4b0, v46
	v_add_nc_u32_e32 v43, 0x5dc, v46
	;; [unrolled: 1-line block ×13, first 2 shown]
                                        ; implicit-def: $vgpr13
                                        ; implicit-def: $vgpr17
                                        ; implicit-def: $vgpr51
                                        ; implicit-def: $vgpr53
                                        ; implicit-def: $vgpr16
                                        ; implicit-def: $vgpr14
                                        ; implicit-def: $vgpr52
                                        ; implicit-def: $vgpr49
                                        ; implicit-def: $vgpr19
                                        ; implicit-def: $vgpr18
                                        ; implicit-def: $vgpr54
                                        ; implicit-def: $vgpr50
                                        ; implicit-def: $vgpr20
                                        ; implicit-def: $vgpr9
                                        ; implicit-def: $vgpr55
                                        ; implicit-def: $vgpr23
                                        ; implicit-def: $vgpr11
                                        ; implicit-def: $vgpr1
                                        ; implicit-def: $vgpr10
                                        ; implicit-def: $vgpr0
                                        ; implicit-def: $vgpr67
                                        ; implicit-def: $vgpr64
                                        ; implicit-def: $vgpr88
                                        ; implicit-def: $vgpr81
                                        ; implicit-def: $vgpr68
                                        ; implicit-def: $vgpr65
                                        ; implicit-def: $vgpr89
                                        ; implicit-def: $vgpr80
                                        ; implicit-def: $vgpr71
                                        ; implicit-def: $vgpr21
                                        ; implicit-def: $vgpr90
                                        ; implicit-def: $vgpr58
                                        ; implicit-def: $vgpr73
                                        ; implicit-def: $vgpr22
                                        ; implicit-def: $vgpr91
                                        ; implicit-def: $vgpr59
                                        ; implicit-def: $vgpr66
                                        ; implicit-def: $vgpr15
                                        ; implicit-def: $vgpr60
                                        ; implicit-def: $vgpr12
                                        ; implicit-def: $vgpr77
                                        ; implicit-def: $vgpr72
                                        ; implicit-def: $vgpr83
                                        ; implicit-def: $vgpr75
                                        ; implicit-def: $vgpr78
                                        ; implicit-def: $vgpr61
                                        ; implicit-def: $vgpr84
                                        ; implicit-def: $vgpr69
                                        ; implicit-def: $vgpr79
                                        ; implicit-def: $vgpr62
                                        ; implicit-def: $vgpr85
                                        ; implicit-def: $vgpr70
                                        ; implicit-def: $vgpr82
                                        ; implicit-def: $vgpr63
                                        ; implicit-def: $vgpr86
                                        ; implicit-def: $vgpr74
                                        ; implicit-def: $vgpr76
                                        ; implicit-def: $vgpr57
                                        ; implicit-def: $vgpr92
                                        ; implicit-def: $vgpr56
	s_wait_alu 0xfffe
	s_xor_b32 exec_lo, exec_lo, s1
	s_cbranch_execz .LBB0_13
; %bb.12:
	v_mad_co_u64_u32 v[0:1], null, s8, v46, 0
	v_mad_co_u64_u32 v[6:7], null, s8, v44, 0
	;; [unrolled: 1-line block ×4, first 2 shown]
	s_delay_alu instid0(VALU_DEP_4) | instskip(NEXT) | instid1(VALU_DEP_4)
	v_mad_co_u64_u32 v[10:11], null, s9, v46, v[1:2]
	v_mov_b32_e32 v4, v7
	v_mad_co_u64_u32 v[11:12], null, s8, v40, 0
	v_mov_b32_e32 v1, v9
	v_mad_co_u64_u32 v[47:48], null, s8, v37, 0
	s_delay_alu instid0(VALU_DEP_4) | instskip(NEXT) | instid1(VALU_DEP_3)
	v_mad_co_u64_u32 v[13:14], null, s9, v44, v[4:5]
	v_mad_co_u64_u32 v[14:15], null, s9, v42, v[1:2]
	v_dual_mov_b32 v1, v10 :: v_dual_mov_b32 v10, v12
	v_mad_co_u64_u32 v[15:16], null, s8, v45, 0
	s_delay_alu instid0(VALU_DEP_4) | instskip(NEXT) | instid1(VALU_DEP_3)
	v_mov_b32_e32 v7, v13
	v_lshlrev_b64_e32 v[0:1], 2, v[0:1]
	s_delay_alu instid0(VALU_DEP_4)
	v_mad_co_u64_u32 v[12:13], null, s9, v40, v[10:11]
	v_mov_b32_e32 v9, v14
	v_mad_co_u64_u32 v[13:14], null, s8, v43, 0
	v_mov_b32_e32 v10, v16
	v_add_co_u32 v4, s0, s10, v24
	s_wait_alu 0xf1ff
	v_add_co_ci_u32_e64 v5, s0, s11, v25, s0
	v_lshlrev_b64_e32 v[6:7], 2, v[6:7]
	v_mad_co_u64_u32 v[16:17], null, s9, v45, v[10:11]
	v_mov_b32_e32 v10, v14
	v_lshlrev_b64_e32 v[11:12], 2, v[11:12]
	v_add_co_u32 v0, s0, v4, v0
	v_lshlrev_b64_e32 v[8:9], 2, v[8:9]
	v_mad_co_u64_u32 v[17:18], null, s8, v41, 0
	s_wait_alu 0xf1ff
	v_add_co_ci_u32_e64 v1, s0, v5, v1, s0
	v_add_co_u32 v6, s0, v4, v6
	s_wait_alu 0xf1ff
	v_add_co_ci_u32_e64 v7, s0, v5, v7, s0
	v_mad_co_u64_u32 v[19:20], null, s9, v43, v[10:11]
	v_add_co_u32 v8, s0, v4, v8
	v_mad_co_u64_u32 v[20:21], null, s8, v39, 0
	s_wait_alu 0xf1ff
	v_add_co_ci_u32_e64 v9, s0, v5, v9, s0
	v_mov_b32_e32 v10, v18
	v_add_co_u32 v11, s0, v4, v11
	v_mov_b32_e32 v14, v19
	v_lshlrev_b64_e32 v[15:16], 2, v[15:16]
	s_wait_alu 0xf1ff
	v_add_co_ci_u32_e64 v12, s0, v5, v12, s0
	v_mad_co_u64_u32 v[18:19], null, s9, v41, v[10:11]
	v_mov_b32_e32 v10, v21
	v_lshlrev_b64_e32 v[13:14], 2, v[13:14]
	v_add_co_u32 v15, s0, v4, v15
	s_wait_alu 0xf1ff
	v_add_co_ci_u32_e64 v16, s0, v5, v16, s0
	v_mad_co_u64_u32 v[21:22], null, s9, v39, v[10:11]
	v_lshlrev_b64_e32 v[17:18], 2, v[17:18]
	v_mad_co_u64_u32 v[22:23], null, s8, v38, 0
	v_add_co_u32 v13, s0, v4, v13
	s_wait_alu 0xf1ff
	v_add_co_ci_u32_e64 v14, s0, v5, v14, s0
	v_lshlrev_b64_e32 v[19:20], 2, v[20:21]
	v_add_co_u32 v17, s0, v4, v17
	s_wait_alu 0xf1ff
	v_add_co_ci_u32_e64 v18, s0, v5, v18, s0
	s_delay_alu instid0(VALU_DEP_3)
	v_add_co_u32 v19, s0, v4, v19
	s_wait_alu 0xf1ff
	v_add_co_ci_u32_e64 v20, s0, v5, v20, s0
	s_clause 0x7
	global_load_b32 v56, v[0:1], off
	global_load_b32 v57, v[6:7], off
	global_load_b32 v74, v[8:9], off
	global_load_b32 v63, v[11:12], off
	global_load_b32 v70, v[15:16], off
	global_load_b32 v62, v[13:14], off
	global_load_b32 v69, v[17:18], off
	global_load_b32 v61, v[19:20], off
	v_mad_co_u64_u32 v[8:9], null, s8, v31, 0
	v_mov_b32_e32 v10, v23
	v_mad_co_u64_u32 v[12:13], null, s8, v36, 0
	v_mad_co_u64_u32 v[16:17], null, s8, v35, 0
	s_delay_alu instid0(VALU_DEP_3) | instskip(SKIP_3) | instid1(VALU_DEP_4)
	v_mad_co_u64_u32 v[49:50], null, s9, v38, v[10:11]
	v_mad_co_u64_u32 v[50:51], null, s8, v34, 0
	v_mov_b32_e32 v10, v48
	v_mad_co_u64_u32 v[20:21], null, s8, v33, 0
	v_mov_b32_e32 v23, v49
	s_delay_alu instid0(VALU_DEP_3) | instskip(SKIP_1) | instid1(VALU_DEP_3)
	v_mad_co_u64_u32 v[48:49], null, s9, v37, v[10:11]
	v_mov_b32_e32 v10, v51
	v_lshlrev_b64_e32 v[0:1], 2, v[22:23]
	s_delay_alu instid0(VALU_DEP_2)
	v_mad_co_u64_u32 v[6:7], null, s9, v34, v[10:11]
	v_mov_b32_e32 v7, v53
	v_lshlrev_b64_e32 v[10:11], 2, v[47:48]
	v_mad_co_u64_u32 v[47:48], null, s8, v30, 0
	v_add_co_u32 v0, s0, v4, v0
	v_mov_b32_e32 v51, v6
	v_mad_co_u64_u32 v[6:7], null, s9, v32, v[7:8]
	v_mov_b32_e32 v7, v9
	s_wait_alu 0xf1ff
	v_add_co_ci_u32_e64 v1, s0, v5, v1, s0
	v_lshlrev_b64_e32 v[14:15], 2, v[50:51]
	v_add_co_u32 v10, s0, v4, v10
	v_mov_b32_e32 v53, v6
	v_mad_co_u64_u32 v[6:7], null, s9, v31, v[7:8]
	v_mov_b32_e32 v7, v13
	s_wait_alu 0xf1ff
	v_add_co_ci_u32_e64 v11, s0, v5, v11, s0
	v_lshlrev_b64_e32 v[18:19], 2, v[52:53]
	;; [unrolled: 7-line block ×3, first 2 shown]
	v_add_co_u32 v18, s0, v4, v18
	v_mov_b32_e32 v13, v6
	s_wait_alu 0xf1ff
	v_add_co_ci_u32_e64 v19, s0, v5, v19, s0
	s_delay_alu instid0(VALU_DEP_4) | instskip(NEXT) | instid1(VALU_DEP_3)
	v_mad_co_u64_u32 v[6:7], null, s9, v35, v[7:8]
	v_lshlrev_b64_e32 v[12:13], 2, v[12:13]
	v_mov_b32_e32 v7, v21
	v_add_co_u32 v8, s0, v4, v8
	s_wait_alu 0xf1ff
	v_add_co_ci_u32_e64 v9, s0, v5, v9, s0
	v_mov_b32_e32 v17, v6
	v_add_co_u32 v6, s0, v4, v12
	v_mad_co_u64_u32 v[21:22], null, s9, v33, v[7:8]
	s_wait_alu 0xf1ff
	v_add_co_ci_u32_e64 v7, s0, v5, v13, s0
	v_lshlrev_b64_e32 v[12:13], 2, v[16:17]
	v_mad_co_u64_u32 v[53:54], null, s8, v28, 0
	v_mov_b32_e32 v16, v48
	v_mad_co_u64_u32 v[49:50], null, s8, v29, 0
	s_delay_alu instid0(VALU_DEP_4) | instskip(SKIP_3) | instid1(VALU_DEP_1)
	v_add_co_u32 v51, s0, v4, v12
	s_wait_alu 0xf1ff
	v_add_co_ci_u32_e64 v52, s0, v5, v13, s0
	v_lshlrev_b64_e32 v[12:13], 2, v[20:21]
	v_add_co_u32 v20, s0, v4, v12
	s_wait_alu 0xf1ff
	s_delay_alu instid0(VALU_DEP_2)
	v_add_co_ci_u32_e64 v21, s0, v5, v13, s0
	s_clause 0x7
	global_load_b32 v75, v[0:1], off
	global_load_b32 v72, v[10:11], off
	;; [unrolled: 1-line block ×8, first 2 shown]
	v_mov_b32_e32 v13, v54
	s_delay_alu instid0(VALU_DEP_1) | instskip(SKIP_2) | instid1(VALU_DEP_3)
	v_mad_co_u64_u32 v[6:7], null, s9, v28, v[13:14]
	v_mad_co_u64_u32 v[7:8], null, s8, v27, 0
	;; [unrolled: 1-line block ×3, first 2 shown]
	v_mov_b32_e32 v54, v6
	s_delay_alu instid0(VALU_DEP_3) | instskip(SKIP_1) | instid1(VALU_DEP_1)
	v_mov_b32_e32 v6, v8
	v_mad_co_u64_u32 v[16:17], null, s9, v30, v[16:17]
	v_dual_mov_b32 v17, v50 :: v_dual_mov_b32 v48, v16
	s_delay_alu instid0(VALU_DEP_1) | instskip(NEXT) | instid1(VALU_DEP_4)
	v_mad_co_u64_u32 v[16:17], null, s9, v29, v[17:18]
	v_mad_co_u64_u32 v[18:19], null, s9, v27, v[6:7]
	v_mov_b32_e32 v6, v14
	s_delay_alu instid0(VALU_DEP_4)
	v_lshlrev_b64_e32 v[0:1], 2, v[47:48]
	v_lshlrev_b64_e32 v[19:20], 2, v[53:54]
	v_mov_b32_e32 v50, v16
	v_mad_co_u64_u32 v[16:17], null, s8, v3, 0
	v_mov_b32_e32 v8, v18
	v_add_co_u32 v0, s0, v4, v0
	s_delay_alu instid0(VALU_DEP_4) | instskip(SKIP_4) | instid1(VALU_DEP_4)
	v_lshlrev_b64_e32 v[9:10], 2, v[49:50]
	s_wait_alu 0xf1ff
	v_add_co_ci_u32_e64 v1, s0, v5, v1, s0
	v_mov_b32_e32 v11, v17
	v_mad_co_u64_u32 v[17:18], null, s9, v26, v[6:7]
	v_add_co_u32 v9, s0, v4, v9
	s_wait_alu 0xf1ff
	v_add_co_ci_u32_e64 v10, s0, v5, v10, s0
	v_add_co_u32 v18, s0, v4, v19
	s_delay_alu instid0(VALU_DEP_4) | instskip(SKIP_3) | instid1(VALU_DEP_3)
	v_mov_b32_e32 v14, v17
	s_wait_alu 0xf1ff
	v_add_co_ci_u32_e64 v19, s0, v5, v20, s0
	v_lshlrev_b64_e32 v[6:7], 2, v[7:8]
	v_lshlrev_b64_e32 v[13:14], 2, v[13:14]
	s_delay_alu instid0(VALU_DEP_2) | instskip(SKIP_1) | instid1(VALU_DEP_3)
	v_add_co_u32 v6, s0, v4, v6
	s_wait_alu 0xf1ff
	v_add_co_ci_u32_e64 v7, s0, v5, v7, s0
	s_delay_alu instid0(VALU_DEP_3)
	v_add_co_u32 v13, s0, v4, v13
	s_wait_alu 0xf1ff
	v_add_co_ci_u32_e64 v14, s0, v5, v14, s0
	s_wait_loadcnt 0xf
	v_lshrrev_b32_e32 v92, 16, v56
	s_wait_loadcnt 0xd
	v_lshrrev_b32_e32 v86, 16, v74
	;; [unrolled: 2-line block ×8, first 2 shown]
	s_wait_loadcnt 0x5
	v_mad_co_u64_u32 v[47:48], null, s9, v3, v[11:12]
	v_add_nc_u32_e32 v20, 0x44c, v46
	v_lshrrev_b32_e32 v60, 16, v12
	s_wait_loadcnt 0x3
	v_lshrrev_b32_e32 v91, 16, v59
	s_wait_loadcnt 0x2
	v_lshrrev_b32_e32 v73, 16, v22
	s_wait_loadcnt 0x1
	v_lshrrev_b32_e32 v90, 16, v58
	s_wait_loadcnt 0x0
	v_lshrrev_b32_e32 v71, 16, v21
	v_mov_b32_e32 v17, v47
	v_mad_co_u64_u32 v[47:48], null, s8, v2, 0
	v_mad_co_u64_u32 v[49:50], null, s8, v20, 0
	s_delay_alu instid0(VALU_DEP_3) | instskip(NEXT) | instid1(VALU_DEP_2)
	v_lshlrev_b64_e32 v[16:17], 2, v[16:17]
	v_dual_mov_b32 v8, v48 :: v_dual_mov_b32 v11, v50
	s_delay_alu instid0(VALU_DEP_2) | instskip(NEXT) | instid1(VALU_DEP_2)
	v_add_co_u32 v16, s0, v4, v16
	v_mad_co_u64_u32 v[50:51], null, s9, v2, v[8:9]
	v_add_nc_u32_e32 v23, 0x578, v46
	s_delay_alu instid0(VALU_DEP_4)
	v_mad_co_u64_u32 v[51:52], null, s9, v20, v[11:12]
	v_add_nc_u32_e32 v11, 0x6a4, v46
	s_wait_alu 0xf1ff
	v_add_co_ci_u32_e64 v17, s0, v5, v17, s0
	v_mov_b32_e32 v48, v50
	v_mad_co_u64_u32 v[52:53], null, s8, v23, 0
	v_dual_mov_b32 v50, v51 :: v_dual_add_nc_u32 v51, 0x8fc, v46
	s_delay_alu instid0(VALU_DEP_3) | instskip(SKIP_1) | instid1(VALU_DEP_3)
	v_lshlrev_b64_e32 v[47:48], 2, v[47:48]
	v_add_nc_u32_e32 v20, 0x7d0, v46
	v_lshlrev_b64_e32 v[49:50], 2, v[49:50]
	v_mov_b32_e32 v8, v53
	v_mad_co_u64_u32 v[76:77], null, s8, v51, 0
	v_add_co_u32 v47, s0, v4, v47
	s_delay_alu instid0(VALU_DEP_3)
	v_mad_co_u64_u32 v[53:54], null, s9, v23, v[8:9]
	v_mad_co_u64_u32 v[54:55], null, s8, v11, 0
	s_wait_alu 0xf1ff
	v_add_co_ci_u32_e64 v48, s0, v5, v48, s0
	v_add_co_u32 v49, s0, v4, v49
	s_wait_alu 0xf1ff
	v_add_co_ci_u32_e64 v50, s0, v5, v50, s0
	s_delay_alu instid0(VALU_DEP_4) | instskip(NEXT) | instid1(VALU_DEP_1)
	v_mov_b32_e32 v8, v55
	v_mad_co_u64_u32 v[66:67], null, s9, v11, v[8:9]
	s_clause 0x7
	global_load_b32 v80, v[0:1], off
	global_load_b32 v65, v[9:10], off
	;; [unrolled: 1-line block ×8, first 2 shown]
	v_mad_co_u64_u32 v[67:68], null, s8, v20, 0
	v_lshlrev_b64_e32 v[7:8], 2, v[52:53]
	v_add_nc_u32_e32 v47, 0xa28, v46
	v_add_nc_u32_e32 v49, 0xb54, v46
	v_mov_b32_e32 v55, v66
	v_lshrrev_b32_e32 v66, 16, v15
	v_mov_b32_e32 v6, v68
	v_mad_co_u64_u32 v[13:14], null, s8, v47, 0
	s_delay_alu instid0(VALU_DEP_2) | instskip(SKIP_2) | instid1(VALU_DEP_2)
	v_mad_co_u64_u32 v[10:11], null, s9, v20, v[6:7]
	v_mov_b32_e32 v6, v77
	v_lshlrev_b64_e32 v[19:20], 2, v[54:55]
	v_mad_co_u64_u32 v[16:17], null, s9, v51, v[6:7]
	v_mad_co_u64_u32 v[17:18], null, s8, v49, 0
	v_add_co_u32 v6, s0, v4, v7
	s_wait_alu 0xf1ff
	v_add_co_ci_u32_e64 v7, s0, v5, v8, s0
	v_mov_b32_e32 v8, v14
	v_dual_mov_b32 v68, v10 :: v_dual_mov_b32 v77, v16
	v_add_co_u32 v19, s0, v4, v19
	s_wait_alu 0xf1ff
	v_add_co_ci_u32_e64 v20, s0, v5, v20, s0
	s_wait_loadcnt 0x7
	v_lshrrev_b32_e32 v89, 16, v80
	s_wait_loadcnt 0x5
	v_lshrrev_b32_e32 v88, 16, v81
	;; [unrolled: 2-line block ×3, first 2 shown]
	s_wait_loadcnt 0x0
	v_mad_co_u64_u32 v[10:11], null, s9, v47, v[8:9]
	v_mov_b32_e32 v8, v18
	v_lshlrev_b64_e32 v[47:48], 2, v[67:68]
	v_lshrrev_b32_e32 v68, 16, v65
	v_lshrrev_b32_e32 v67, 16, v64
	s_delay_alu instid0(VALU_DEP_4)
	v_mad_co_u64_u32 v[49:50], null, s9, v49, v[8:9]
	v_mov_b32_e32 v14, v10
	v_lshlrev_b64_e32 v[50:51], 2, v[76:77]
	v_add_co_u32 v10, s0, v4, v47
	s_wait_alu 0xf1ff
	v_add_co_ci_u32_e64 v11, s0, v5, v48, s0
	v_mov_b32_e32 v18, v49
	v_lshlrev_b64_e32 v[13:14], 2, v[13:14]
	v_add_co_u32 v47, s0, v4, v50
	s_wait_alu 0xf1ff
	v_add_co_ci_u32_e64 v48, s0, v5, v51, s0
	v_lshlrev_b64_e32 v[16:17], 2, v[17:18]
	s_delay_alu instid0(VALU_DEP_4) | instskip(SKIP_3) | instid1(VALU_DEP_4)
	v_add_co_u32 v51, s0, v4, v13
	s_wait_alu 0xf1ff
	v_add_co_ci_u32_e64 v52, s0, v5, v14, s0
	v_lshrrev_b32_e32 v76, 16, v57
	v_add_co_u32 v4, s0, v4, v16
	s_wait_alu 0xf1ff
	v_add_co_ci_u32_e64 v5, s0, v5, v17, s0
	s_clause 0x5
	global_load_b32 v50, v[6:7], off
	global_load_b32 v18, v[19:20], off
	;; [unrolled: 1-line block ×6, first 2 shown]
	v_mov_b32_e32 v47, v26
	v_lshrrev_b32_e32 v77, 16, v72
	v_lshrrev_b32_e32 v10, 16, v0
	;; [unrolled: 1-line block ×4, first 2 shown]
	v_dual_mov_b32 v4, v40 :: v_dual_mov_b32 v5, v31
	v_dual_mov_b32 v6, v42 :: v_dual_mov_b32 v7, v32
	v_mov_b32_e32 v8, v44
	v_mov_b32_e32 v48, v34
	s_wait_loadcnt 0x5
	v_lshrrev_b32_e32 v54, 16, v50
	s_wait_loadcnt 0x4
	v_lshrrev_b32_e32 v19, 16, v18
	;; [unrolled: 2-line block ×6, first 2 shown]
.LBB0_13:
	s_or_b32 exec_lo, exec_lo, s1
	v_add_f16_e32 v87, v69, v70
	v_sub_f16_e32 v94, v86, v83
	v_add_f16_e32 v93, v74, v56
	v_sub_f16_e32 v95, v85, v84
	v_sub_f16_e32 v96, v74, v70
	v_fma_f16 v97, -0.5, v87, v56
	v_sub_f16_e32 v87, v75, v69
	v_add_f16_e32 v98, v75, v74
	v_add_f16_e32 v93, v70, v93
	;; [unrolled: 1-line block ×3, first 2 shown]
	v_fmamk_f16 v100, v94, 0xbb9c, v97
	v_fmac_f16_e32 v97, 0x3b9c, v94
	v_add_f16_e32 v87, v87, v96
	v_fmac_f16_e32 v56, -0.5, v98
	v_sub_f16_e32 v99, v70, v74
	v_fmac_f16_e32 v100, 0xb8b4, v95
	v_fmac_f16_e32 v97, 0x38b4, v95
	v_add_f16_e32 v93, v69, v93
	v_sub_f16_e32 v96, v69, v75
	v_fmamk_f16 v98, v95, 0x3b9c, v56
	v_fmac_f16_e32 v100, 0x34f2, v87
	v_add_f16_e32 v102, v84, v85
	v_fmac_f16_e32 v56, 0xbb9c, v95
	v_add_f16_e32 v95, v85, v101
	;; [unrolled: 2-line block ×3, first 2 shown]
	v_add_f16_e32 v93, v75, v93
	v_add_f16_e32 v96, v96, v99
	v_fma_f16 v99, -0.5, v102, v92
	v_sub_f16_e32 v74, v74, v75
	v_add_f16_e32 v75, v84, v95
	v_sub_f16_e32 v69, v70, v69
	v_sub_f16_e32 v70, v86, v85
	;; [unrolled: 1-line block ×3, first 2 shown]
	v_fmac_f16_e32 v92, -0.5, v87
	v_fmac_f16_e32 v98, 0xb8b4, v94
	v_fmac_f16_e32 v56, 0x38b4, v94
	v_fmamk_f16 v94, v74, 0x3b9c, v99
	v_add_f16_e32 v75, v83, v75
	v_add_f16_e32 v70, v95, v70
	v_fmac_f16_e32 v99, 0xbb9c, v74
	v_fmamk_f16 v95, v69, 0xbb9c, v92
	v_sub_f16_e32 v85, v85, v86
	v_sub_f16_e32 v83, v84, v83
	v_add_f16_e32 v84, v63, v57
	v_fmac_f16_e32 v92, 0x3b9c, v69
	v_fmac_f16_e32 v94, 0x38b4, v69
	;; [unrolled: 1-line block ×4, first 2 shown]
	v_add_f16_e32 v83, v83, v85
	v_add_f16_e32 v69, v62, v84
	;; [unrolled: 1-line block ×3, first 2 shown]
	v_fmac_f16_e32 v92, 0xb8b4, v74
	v_add_f16_e32 v74, v72, v63
	v_fmac_f16_e32 v94, 0x34f2, v70
	v_fmac_f16_e32 v99, 0x34f2, v70
	;; [unrolled: 1-line block ×3, first 2 shown]
	v_fma_f16 v70, -0.5, v84, v57
	v_sub_f16_e32 v84, v82, v77
	v_fmac_f16_e32 v92, 0x34f2, v83
	v_sub_f16_e32 v83, v79, v78
	v_fmac_f16_e32 v57, -0.5, v74
	v_sub_f16_e32 v85, v63, v62
	v_fmamk_f16 v74, v84, 0xbb9c, v70
	v_sub_f16_e32 v86, v72, v61
	v_fmac_f16_e32 v70, 0x3b9c, v84
	v_fmamk_f16 v87, v83, 0x3b9c, v57
	v_fmac_f16_e32 v57, 0xbb9c, v83
	v_fmac_f16_e32 v98, 0x34f2, v96
	v_fmac_f16_e32 v56, 0x34f2, v96
	v_add_f16_e32 v69, v61, v69
	v_sub_f16_e32 v96, v62, v63
	v_sub_f16_e32 v101, v61, v72
	v_fmac_f16_e32 v74, 0xb8b4, v83
	v_add_f16_e32 v85, v86, v85
	v_fmac_f16_e32 v70, 0x38b4, v83
	v_fmac_f16_e32 v87, 0xb8b4, v84
	v_add_f16_e32 v83, v78, v79
	v_fmac_f16_e32 v57, 0x38b4, v84
	v_add_f16_e32 v84, v77, v82
	v_add_f16_e32 v69, v72, v69
	;; [unrolled: 1-line block ×3, first 2 shown]
	v_fmac_f16_e32 v74, 0x34f2, v85
	v_fmac_f16_e32 v70, 0x34f2, v85
	v_fma_f16 v85, -0.5, v83, v76
	v_sub_f16_e32 v63, v63, v72
	v_add_f16_e32 v72, v82, v76
	v_sub_f16_e32 v61, v62, v61
	v_fmac_f16_e32 v76, -0.5, v84
	v_fmac_f16_e32 v87, 0x34f2, v86
	v_fmac_f16_e32 v57, 0x34f2, v86
	v_fmamk_f16 v86, v63, 0x3b9c, v85
	v_sub_f16_e32 v62, v82, v79
	v_sub_f16_e32 v83, v77, v78
	v_fmamk_f16 v96, v61, 0xbb9c, v76
	v_sub_f16_e32 v82, v79, v82
	v_sub_f16_e32 v84, v78, v77
	v_fmac_f16_e32 v76, 0x3b9c, v61
	v_fmac_f16_e32 v85, 0xbb9c, v63
	;; [unrolled: 1-line block ×3, first 2 shown]
	v_add_f16_e32 v62, v83, v62
	v_add_f16_e32 v82, v84, v82
	v_fmac_f16_e32 v76, 0xb8b4, v63
	v_fmac_f16_e32 v85, 0xb8b4, v61
	v_fmac_f16_e32 v96, 0x38b4, v63
	v_fmac_f16_e32 v86, 0x34f2, v62
	v_add_f16_e32 v63, v79, v72
	v_fmac_f16_e32 v76, 0x34f2, v82
	v_fmac_f16_e32 v85, 0x34f2, v62
	;; [unrolled: 1-line block ×3, first 2 shown]
	v_mul_f16_e32 v72, 0xb8b4, v86
	v_add_f16_e32 v61, v78, v63
	v_mul_f16_e32 v102, 0xbb9c, v76
	v_mul_f16_e32 v104, 0xb8b4, v85
	;; [unrolled: 1-line block ×4, first 2 shown]
	v_fmac_f16_e32 v72, 0x3a79, v74
	v_fmac_f16_e32 v102, 0xb4f2, v57
	v_add_f16_e32 v62, v69, v93
	v_fmac_f16_e32 v104, 0xba79, v70
	v_mul_f16_e32 v74, 0x38b4, v74
	v_mul_f16_e32 v105, 0x3b9c, v87
	v_fmac_f16_e32 v106, 0x3b9c, v57
	v_sub_f16_e32 v57, v93, v69
	v_add_f16_e32 v69, v80, v58
	v_add_f16_e32 v103, v77, v61
	v_fmac_f16_e32 v101, 0x34f2, v87
	v_mul_f16_e32 v107, 0xba79, v85
	v_add_f16_e32 v84, v97, v104
	v_fmac_f16_e32 v74, 0x3a79, v86
	v_fmac_f16_e32 v105, 0x34f2, v96
	v_sub_f16_e32 v86, v97, v104
	v_add_f16_e32 v93, v59, v12
	v_fma_f16 v96, -0.5, v69, v12
	v_sub_f16_e32 v97, v91, v88
	v_add_f16_e32 v63, v100, v72
	v_add_f16_e32 v82, v98, v101
	v_fmac_f16_e32 v107, 0x38b4, v70
	v_add_f16_e32 v76, v103, v75
	v_add_f16_e32 v77, v94, v74
	v_add_f16_e32 v78, v95, v105
	v_sub_f16_e32 v85, v100, v72
	v_sub_f16_e32 v87, v98, v101
	v_sub_f16_e32 v69, v75, v103
	v_sub_f16_e32 v70, v94, v74
	v_sub_f16_e32 v72, v95, v105
	v_add_f16_e32 v75, v58, v93
	v_fmamk_f16 v93, v97, 0xbb9c, v96
	v_sub_f16_e32 v94, v90, v89
	v_sub_f16_e32 v95, v59, v58
	;; [unrolled: 1-line block ×3, first 2 shown]
	v_add_f16_e32 v100, v81, v59
	v_fmac_f16_e32 v96, 0x3b9c, v97
	v_add_f16_e32 v83, v56, v102
	v_add_f16_e32 v79, v92, v106
	v_add_f16_e32 v61, v99, v107
	v_sub_f16_e32 v56, v56, v102
	v_sub_f16_e32 v74, v92, v106
	v_add_f16_e32 v92, v80, v75
	v_fmac_f16_e32 v93, 0xb8b4, v94
	v_add_f16_e32 v95, v98, v95
	v_fmac_f16_e32 v12, -0.5, v100
	v_sub_f16_e32 v75, v99, v107
	v_sub_f16_e32 v99, v58, v59
	;; [unrolled: 1-line block ×3, first 2 shown]
	v_fmac_f16_e32 v96, 0x38b4, v94
	v_add_f16_e32 v101, v91, v60
	v_add_f16_e32 v102, v89, v90
	v_fmac_f16_e32 v93, 0x34f2, v95
	v_fmamk_f16 v98, v94, 0x3b9c, v12
	v_add_f16_e32 v99, v100, v99
	v_fmac_f16_e32 v12, 0xbb9c, v94
	v_add_f16_e32 v94, v90, v101
	v_fma_f16 v100, -0.5, v102, v60
	v_sub_f16_e32 v59, v59, v81
	v_fmac_f16_e32 v96, 0x34f2, v95
	v_add_f16_e32 v95, v88, v91
	v_add_f16_e32 v92, v81, v92
	v_fmac_f16_e32 v98, 0xb8b4, v97
	v_fmac_f16_e32 v12, 0x38b4, v97
	v_add_f16_e32 v81, v89, v94
	v_fmamk_f16 v94, v59, 0x3b9c, v100
	v_sub_f16_e32 v58, v58, v80
	v_sub_f16_e32 v80, v91, v90
	;; [unrolled: 1-line block ×3, first 2 shown]
	v_fmac_f16_e32 v60, -0.5, v95
	v_fmac_f16_e32 v100, 0xbb9c, v59
	v_add_f16_e32 v81, v88, v81
	v_fmac_f16_e32 v94, 0x38b4, v58
	v_add_f16_e32 v80, v97, v80
	v_fmamk_f16 v95, v58, 0xbb9c, v60
	v_sub_f16_e32 v90, v90, v91
	v_sub_f16_e32 v88, v89, v88
	v_add_f16_e32 v89, v22, v15
	v_fmac_f16_e32 v100, 0xb8b4, v58
	v_fmac_f16_e32 v60, 0x3b9c, v58
	;; [unrolled: 1-line block ×4, first 2 shown]
	v_add_f16_e32 v88, v88, v90
	v_add_f16_e32 v58, v21, v89
	;; [unrolled: 1-line block ×3, first 2 shown]
	v_fmac_f16_e32 v100, 0x34f2, v80
	v_fmac_f16_e32 v60, 0xb8b4, v59
	v_add_f16_e32 v80, v64, v22
	v_fmac_f16_e32 v95, 0x34f2, v88
	v_fma_f16 v59, -0.5, v89, v15
	v_sub_f16_e32 v89, v73, v67
	v_fmac_f16_e32 v60, 0x34f2, v88
	v_sub_f16_e32 v88, v71, v68
	v_fmac_f16_e32 v15, -0.5, v80
	v_fmac_f16_e32 v98, 0x34f2, v99
	v_fmamk_f16 v80, v89, 0xbb9c, v59
	v_fmac_f16_e32 v59, 0x3b9c, v89
	v_fmac_f16_e32 v12, 0x34f2, v99
	v_fmamk_f16 v97, v88, 0x3b9c, v15
	v_fmac_f16_e32 v15, 0xbb9c, v88
	v_add_f16_e32 v58, v65, v58
	v_sub_f16_e32 v90, v22, v21
	v_sub_f16_e32 v91, v64, v65
	;; [unrolled: 1-line block ×4, first 2 shown]
	v_fmac_f16_e32 v80, 0xb8b4, v88
	v_fmac_f16_e32 v59, 0x38b4, v88
	v_fmac_f16_e32 v97, 0xb8b4, v89
	v_add_f16_e32 v88, v68, v71
	v_fmac_f16_e32 v15, 0x38b4, v89
	v_add_f16_e32 v89, v67, v73
	v_add_f16_e32 v58, v64, v58
	;; [unrolled: 1-line block ×4, first 2 shown]
	v_fma_f16 v88, -0.5, v88, v66
	v_sub_f16_e32 v22, v22, v64
	v_add_f16_e32 v64, v73, v66
	v_sub_f16_e32 v21, v21, v65
	v_fmac_f16_e32 v66, -0.5, v89
	v_fmac_f16_e32 v80, 0x34f2, v90
	v_fmac_f16_e32 v59, 0x34f2, v90
	;; [unrolled: 1-line block ×4, first 2 shown]
	v_fmamk_f16 v65, v22, 0x3b9c, v88
	v_sub_f16_e32 v89, v73, v71
	v_sub_f16_e32 v90, v67, v68
	v_fmamk_f16 v91, v21, 0xbb9c, v66
	v_sub_f16_e32 v73, v71, v73
	v_sub_f16_e32 v99, v68, v67
	v_fmac_f16_e32 v66, 0x3b9c, v21
	v_fmac_f16_e32 v65, 0x38b4, v21
	v_add_f16_e32 v89, v90, v89
	v_fmac_f16_e32 v91, 0x38b4, v22
	v_add_f16_e32 v73, v99, v73
	v_fmac_f16_e32 v66, 0xb8b4, v22
	v_fmac_f16_e32 v88, 0xbb9c, v22
	v_add_f16_e32 v22, v71, v64
	v_fmac_f16_e32 v65, 0x34f2, v89
	v_fmac_f16_e32 v91, 0x34f2, v73
	;; [unrolled: 1-line block ×4, first 2 shown]
	v_add_f16_e32 v21, v68, v22
	v_mul_f16_e32 v22, 0xb8b4, v65
	v_mul_f16_e32 v64, 0xbb9c, v91
	;; [unrolled: 1-line block ×3, first 2 shown]
	v_fmac_f16_e32 v88, 0x34f2, v89
	v_add_f16_e32 v21, v67, v21
	v_fmac_f16_e32 v22, 0x3a79, v80
	v_fmac_f16_e32 v64, 0x34f2, v97
	v_mul_f16_e32 v80, 0x38b4, v80
	v_mul_f16_e32 v97, 0x3b9c, v97
	;; [unrolled: 1-line block ×4, first 2 shown]
	v_fmac_f16_e32 v68, 0xb4f2, v15
	v_fmac_f16_e32 v80, 0x3a79, v65
	;; [unrolled: 1-line block ×3, first 2 shown]
	v_add_f16_e32 v71, v58, v92
	v_add_f16_e32 v73, v93, v22
	v_fmac_f16_e32 v67, 0xba79, v59
	v_mul_f16_e32 v88, 0xba79, v88
	v_fmac_f16_e32 v66, 0x3b9c, v15
	v_add_f16_e32 v101, v94, v80
	v_add_f16_e32 v102, v95, v97
	v_sub_f16_e32 v15, v92, v58
	v_sub_f16_e32 v22, v93, v22
	v_add_f16_e32 v58, v49, v50
	v_sub_f16_e32 v93, v94, v80
	v_sub_f16_e32 v94, v95, v97
	v_add_f16_e32 v95, v53, v23
	v_add_f16_e32 v89, v98, v64
	;; [unrolled: 1-line block ×4, first 2 shown]
	v_fmac_f16_e32 v88, 0x38b4, v59
	v_add_f16_e32 v91, v21, v81
	v_sub_f16_e32 v59, v98, v64
	v_sub_f16_e32 v12, v12, v68
	;; [unrolled: 1-line block ×3, first 2 shown]
	v_add_f16_e32 v65, v23, v0
	v_fma_f16 v58, -0.5, v58, v0
	v_sub_f16_e32 v67, v55, v51
	v_sub_f16_e32 v92, v81, v21
	;; [unrolled: 1-line block ×5, first 2 shown]
	v_fmac_f16_e32 v0, -0.5, v95
	v_add_f16_e32 v103, v60, v66
	v_add_f16_e32 v104, v100, v88
	;; [unrolled: 1-line block ×3, first 2 shown]
	v_fmamk_f16 v65, v67, 0xbb9c, v58
	v_sub_f16_e32 v60, v60, v66
	v_add_f16_e32 v66, v81, v80
	v_sub_f16_e32 v95, v100, v88
	v_fmac_f16_e32 v58, 0x3b9c, v67
	v_fmamk_f16 v80, v68, 0x3b9c, v0
	v_sub_f16_e32 v81, v50, v23
	v_sub_f16_e32 v88, v49, v53
	v_add_f16_e32 v96, v55, v10
	v_add_f16_e32 v97, v52, v54
	v_fmac_f16_e32 v0, 0xbb9c, v68
	v_add_f16_e32 v21, v49, v21
	v_fmac_f16_e32 v65, 0xb8b4, v68
	v_fmac_f16_e32 v58, 0x38b4, v68
	;; [unrolled: 1-line block ×3, first 2 shown]
	v_add_f16_e32 v81, v88, v81
	v_add_f16_e32 v68, v54, v96
	v_fma_f16 v88, -0.5, v97, v10
	v_sub_f16_e32 v23, v23, v53
	v_fmac_f16_e32 v0, 0x38b4, v67
	v_add_f16_e32 v67, v51, v55
	v_add_f16_e32 v21, v53, v21
	v_fmac_f16_e32 v65, 0x34f2, v66
	v_fmac_f16_e32 v58, 0x34f2, v66
	v_add_f16_e32 v53, v52, v68
	v_fmamk_f16 v66, v23, 0x3b9c, v88
	v_sub_f16_e32 v49, v50, v49
	v_sub_f16_e32 v50, v55, v54
	v_sub_f16_e32 v68, v51, v52
	v_fmac_f16_e32 v10, -0.5, v67
	v_fmac_f16_e32 v88, 0xbb9c, v23
	v_add_f16_e32 v53, v51, v53
	v_fmac_f16_e32 v66, 0x38b4, v49
	v_add_f16_e32 v50, v68, v50
	v_fmamk_f16 v67, v49, 0xbb9c, v10
	v_sub_f16_e32 v54, v54, v55
	v_sub_f16_e32 v51, v52, v51
	v_add_f16_e32 v52, v9, v1
	v_fmac_f16_e32 v88, 0xb8b4, v49
	v_fmac_f16_e32 v10, 0x3b9c, v49
	;; [unrolled: 1-line block ×4, first 2 shown]
	v_add_f16_e32 v51, v51, v54
	v_add_f16_e32 v49, v18, v52
	;; [unrolled: 1-line block ×3, first 2 shown]
	v_fmac_f16_e32 v88, 0x34f2, v50
	v_fmac_f16_e32 v10, 0xb8b4, v23
	v_add_f16_e32 v50, v17, v9
	v_fmac_f16_e32 v67, 0x34f2, v51
	v_add_f16_e32 v23, v14, v49
	v_fma_f16 v49, -0.5, v52, v1
	v_sub_f16_e32 v52, v20, v13
	v_fmac_f16_e32 v10, 0x34f2, v51
	v_sub_f16_e32 v51, v19, v16
	v_fmac_f16_e32 v1, -0.5, v50
	v_fmac_f16_e32 v80, 0x34f2, v81
	v_fmamk_f16 v50, v52, 0xbb9c, v49
	v_fmac_f16_e32 v49, 0x3b9c, v52
	v_fmac_f16_e32 v0, 0x34f2, v81
	v_fmamk_f16 v68, v51, 0x3b9c, v1
	v_fmac_f16_e32 v1, 0xbb9c, v51
	v_sub_f16_e32 v54, v9, v18
	v_sub_f16_e32 v55, v17, v14
	;; [unrolled: 1-line block ×4, first 2 shown]
	v_fmac_f16_e32 v50, 0xb8b4, v51
	v_fmac_f16_e32 v49, 0x38b4, v51
	;; [unrolled: 1-line block ×3, first 2 shown]
	v_add_f16_e32 v51, v16, v19
	v_fmac_f16_e32 v1, 0x38b4, v52
	v_add_f16_e32 v52, v13, v20
	v_add_f16_e32 v23, v17, v23
	;; [unrolled: 1-line block ×4, first 2 shown]
	v_fma_f16 v51, -0.5, v51, v11
	v_sub_f16_e32 v9, v9, v17
	v_add_f16_e32 v17, v20, v11
	v_sub_f16_e32 v14, v18, v14
	v_fmac_f16_e32 v11, -0.5, v52
	v_fmac_f16_e32 v68, 0x34f2, v55
	v_fmac_f16_e32 v1, 0x34f2, v55
	v_sub_f16_e32 v52, v20, v19
	v_sub_f16_e32 v20, v19, v20
	v_fmamk_f16 v55, v14, 0xbb9c, v11
	v_sub_f16_e32 v81, v16, v13
	v_fmac_f16_e32 v11, 0x3b9c, v14
	v_fmac_f16_e32 v50, 0x34f2, v54
	;; [unrolled: 1-line block ×3, first 2 shown]
	v_fmamk_f16 v18, v9, 0x3b9c, v51
	v_add_f16_e32 v20, v81, v20
	v_fmac_f16_e32 v11, 0xb8b4, v9
	v_sub_f16_e32 v54, v13, v16
	v_fmac_f16_e32 v51, 0xbb9c, v9
	v_fmac_f16_e32 v18, 0x38b4, v14
	;; [unrolled: 1-line block ×4, first 2 shown]
	v_add_f16_e32 v52, v54, v52
	v_add_f16_e32 v9, v19, v17
	v_fmac_f16_e32 v51, 0xb8b4, v14
	v_fmac_f16_e32 v55, 0x34f2, v20
	v_mul_f16_e32 v17, 0xbb9c, v11
	v_fmac_f16_e32 v18, 0x34f2, v52
	v_add_f16_e32 v9, v16, v9
	v_mul_f16_e32 v11, 0xb4f2, v11
	v_fmac_f16_e32 v51, 0x34f2, v52
	v_fmac_f16_e32 v17, 0xb4f2, v1
	v_mul_f16_e32 v14, 0xb8b4, v18
	v_mul_f16_e32 v16, 0xbb9c, v55
	v_add_f16_e32 v9, v13, v9
	v_fmac_f16_e32 v11, 0x3b9c, v1
	v_add_f16_e32 v54, v0, v17
	v_sub_f16_e32 v0, v0, v17
	v_mul_u32_u24_e32 v17, 10, v46
	v_mul_f16_e32 v13, 0xb8b4, v51
	v_fmac_f16_e32 v14, 0x3a79, v50
	v_mul_f16_e32 v50, 0x38b4, v50
	v_fmac_f16_e32 v16, 0x34f2, v68
	v_add_f16_e32 v19, v23, v21
	v_add_f16_e32 v96, v9, v53
	;; [unrolled: 1-line block ×3, first 2 shown]
	v_sub_f16_e32 v1, v21, v23
	v_sub_f16_e32 v23, v53, v9
	v_sub_f16_e32 v107, v10, v11
	v_lshl_add_u32 v108, v17, 1, 0
	v_pack_b32_f16 v9, v82, v83
	v_pack_b32_f16 v10, v62, v63
	v_fmac_f16_e32 v13, 0xba79, v49
	v_pack_b32_f16 v11, v85, v87
	v_pack_b32_f16 v17, v84, v57
	v_mul_f16_e32 v51, 0xba79, v51
	v_fmac_f16_e32 v50, 0x3a79, v18
	v_pack_b32_f16 v18, v56, v86
	v_mul_i32_i24_e32 v21, 10, v48
	v_add_f16_e32 v20, v65, v14
	v_add_f16_e32 v52, v80, v16
	ds_store_2addr_b32 v108, v10, v9 offset1:1
	ds_store_2addr_b32 v108, v17, v11 offset0:2 offset1:3
	ds_store_b32 v108, v18 offset:16
	v_mul_i32_i24_e32 v10, 10, v47
	v_add_f16_e32 v81, v58, v13
	v_sub_f16_e32 v14, v65, v14
	v_sub_f16_e32 v16, v80, v16
	;; [unrolled: 1-line block ×3, first 2 shown]
	v_fmac_f16_e32 v51, 0x38b4, v49
	v_lshl_add_u32 v49, v21, 1, 0
	v_pack_b32_f16 v9, v89, v90
	v_pack_b32_f16 v11, v71, v73
	;; [unrolled: 1-line block ×5, first 2 shown]
	v_add_f16_e32 v97, v66, v50
	v_sub_f16_e32 v58, v66, v50
	v_lshl_add_u32 v50, v10, 1, 0
	v_pack_b32_f16 v10, v52, v54
	v_pack_b32_f16 v18, v19, v20
	;; [unrolled: 1-line block ×5, first 2 shown]
	v_mul_f16_e32 v68, 0x3b9c, v68
	ds_store_2addr_b32 v49, v11, v9 offset1:1
	ds_store_2addr_b32 v49, v15, v17 offset0:2 offset1:3
	ds_store_b32 v49, v12 offset:16
	ds_store_2addr_b32 v50, v18, v10 offset1:1
	ds_store_2addr_b32 v50, v1, v14 offset0:2 offset1:3
	ds_store_b32 v50, v0 offset:16
	v_and_b32_e32 v0, 0xff, v46
	v_add_f16_e32 v105, v88, v51
	v_sub_f16_e32 v109, v88, v51
	v_fmac_f16_e32 v68, 0x34f2, v55
	v_mad_i32_i24 v51, 0xffffffee, v46, v108
	v_mad_i32_i24 v55, 0xffffffee, v48, v49
	v_pack_b32_f16 v12, v78, v79
	v_pack_b32_f16 v13, v76, v77
	;; [unrolled: 1-line block ×3, first 2 shown]
	v_mul_lo_u16 v70, 0xcd, v0
	v_mad_i32_i24 v56, 0xffffffee, v47, v50
	v_pack_b32_f16 v61, v61, v69
	v_lshl_add_u32 v21, v7, 1, 0
	v_pack_b32_f16 v69, v74, v75
	v_lshl_add_u32 v22, v3, 1, 0
	v_lshl_add_u32 v57, v5, 1, 0
	;; [unrolled: 1-line block ×3, first 2 shown]
	v_add_f16_e32 v98, v67, v68
	v_sub_f16_e32 v106, v67, v68
	global_wb scope:SCOPE_SE
	s_wait_dscnt 0x0
	s_barrier_signal -1
	s_barrier_wait -1
	global_inv scope:SCOPE_SE
	v_lshl_add_u32 v52, v8, 1, 0
	ds_load_u16 v84, v51 offset:4400
	ds_load_u16 v82, v51 offset:4600
	;; [unrolled: 1-line block ×3, first 2 shown]
	v_lshl_add_u32 v53, v6, 1, 0
	ds_load_u16 v17, v51
	ds_load_u16 v88, v51 offset:2000
	ds_load_u16 v87, v51 offset:2200
	;; [unrolled: 1-line block ×7, first 2 shown]
	v_lshl_add_u32 v59, v2, 1, 0
	ds_load_u16 v19, v55
	ds_load_u16 v16, v56
	;; [unrolled: 1-line block ×6, first 2 shown]
	ds_load_u16 v67, v51 offset:3400
	ds_load_u16 v64, v51 offset:3600
	;; [unrolled: 1-line block ×6, first 2 shown]
	ds_load_u16 v10, v54
	ds_load_u16 v89, v51 offset:4200
	ds_load_u16 v90, v51 offset:4000
	;; [unrolled: 1-line block ×3, first 2 shown]
	ds_load_u16 v14, v53
	ds_load_u16 v18, v52
	ds_load_u16 v63, v51 offset:5800
	global_wb scope:SCOPE_SE
	s_wait_dscnt 0x0
	s_barrier_signal -1
	s_barrier_wait -1
	global_inv scope:SCOPE_SE
	ds_store_2addr_b32 v108, v13, v12 offset1:1
	ds_store_2addr_b32 v108, v61, v20 offset0:2 offset1:3
	ds_store_b32 v108, v69 offset:16
	v_lshrrev_b16 v20, 11, v70
	v_pack_b32_f16 v12, v102, v103
	v_pack_b32_f16 v61, v91, v101
	;; [unrolled: 1-line block ×4, first 2 shown]
	v_mul_lo_u16 v13, v20, 10
	v_pack_b32_f16 v70, v104, v92
	v_pack_b32_f16 v60, v60, v95
	;; [unrolled: 1-line block ×4, first 2 shown]
	v_sub_nc_u16 v23, v46, v13
	v_and_b32_e32 v13, 0xff, v48
	ds_store_2addr_b32 v49, v61, v12 offset1:1
	ds_store_2addr_b32 v49, v70, v69 offset0:2 offset1:3
	ds_store_b32 v49, v60 offset:16
	v_pack_b32_f16 v58, v58, v106
	v_pack_b32_f16 v76, v107, v109
	ds_store_2addr_b32 v50, v74, v72 offset1:1
	ds_store_2addr_b32 v50, v75, v58 offset0:2 offset1:3
	ds_store_b32 v50, v76 offset:16
	v_mul_lo_u16 v12, 0xcd, v13
	v_and_b32_e32 v23, 0xff, v23
	global_wb scope:SCOPE_SE
	s_wait_dscnt 0x0
	s_barrier_signal -1
	s_barrier_wait -1
	v_lshrrev_b16 v58, 11, v12
	v_and_b32_e32 v12, 0xffff, v47
	v_lshlrev_b32_e32 v60, 3, v23
	global_inv scope:SCOPE_SE
	v_and_b32_e32 v74, 0xffff, v7
	v_mul_lo_u16 v69, v58, 10
	v_mul_u32_u24_e32 v61, 0xcccd, v12
	global_load_b64 v[92:93], v60, s[4:5]
	v_and_b32_e32 v76, 0xffff, v3
	v_and_b32_e32 v78, 0xffff, v5
	v_sub_nc_u16 v69, v48, v69
	v_and_b32_e32 v20, 0xffff, v20
	v_and_b32_e32 v58, 0xffff, v58
	v_lshlrev_b32_e32 v23, 1, v23
	v_mul_lo_u16 v0, 0x89, v0
	v_and_b32_e32 v69, 0xff, v69
	v_mul_u32_u24_e32 v20, 60, v20
	v_mul_u32_u24_e32 v58, 60, v58
	;; [unrolled: 1-line block ×3, first 2 shown]
	s_delay_alu instid0(VALU_DEP_4) | instskip(NEXT) | instid1(VALU_DEP_4)
	v_lshlrev_b32_e32 v72, 3, v69
	v_add3_u32 v20, 0, v20, v23
	global_load_b64 v[94:95], v72, s[4:5]
	v_lshrrev_b32_e32 v60, 19, v61
	v_and_b32_e32 v61, 0xffff, v8
	v_mul_u32_u24_e32 v72, 0xcccd, v74
	s_delay_alu instid0(VALU_DEP_3) | instskip(NEXT) | instid1(VALU_DEP_3)
	v_mul_lo_u16 v70, v60, 10
	v_mul_u32_u24_e32 v61, 0xcccd, v61
	s_delay_alu instid0(VALU_DEP_2) | instskip(NEXT) | instid1(VALU_DEP_2)
	v_sub_nc_u16 v70, v47, v70
	v_lshrrev_b32_e32 v61, 19, v61
	s_delay_alu instid0(VALU_DEP_2) | instskip(NEXT) | instid1(VALU_DEP_2)
	v_and_b32_e32 v70, 0xffff, v70
	v_mul_lo_u16 v75, v61, 10
	s_delay_alu instid0(VALU_DEP_2) | instskip(NEXT) | instid1(VALU_DEP_2)
	v_lshlrev_b32_e32 v74, 3, v70
	v_sub_nc_u16 v75, v8, v75
	v_lshrrev_b32_e32 v8, 19, v72
	v_mul_u32_u24_e32 v72, 0xcccd, v76
	global_load_b64 v[96:97], v74, s[4:5]
	v_and_b32_e32 v74, 0xffff, v75
	v_mul_lo_u16 v75, v8, 10
	v_lshrrev_b32_e32 v72, 19, v72
	v_mul_u32_u24_e32 v8, 60, v8
	s_delay_alu instid0(VALU_DEP_4) | instskip(NEXT) | instid1(VALU_DEP_4)
	v_lshlrev_b32_e32 v76, 3, v74
	v_sub_nc_u16 v7, v7, v75
	s_delay_alu instid0(VALU_DEP_4) | instskip(SKIP_3) | instid1(VALU_DEP_2)
	v_mul_lo_u16 v75, v72, 10
	global_load_b64 v[98:99], v76, s[4:5]
	v_and_b32_e32 v7, 0xffff, v7
	v_sub_nc_u16 v3, v3, v75
	v_lshlrev_b32_e32 v75, 3, v7
	v_lshlrev_b32_e32 v7, 1, v7
	global_load_b64 v[100:101], v75, s[4:5]
	v_and_b32_e32 v76, 0xffff, v6
	v_mul_u32_u24_e32 v75, 0xcccd, v78
	v_add3_u32 v7, 0, v8, v7
	s_delay_alu instid0(VALU_DEP_3) | instskip(SKIP_1) | instid1(VALU_DEP_4)
	v_mul_u32_u24_e32 v77, 0xcccd, v76
	v_and_b32_e32 v76, 0xffff, v3
	v_lshrrev_b32_e32 v75, 19, v75
	s_delay_alu instid0(VALU_DEP_3) | instskip(NEXT) | instid1(VALU_DEP_3)
	v_lshrrev_b32_e32 v3, 19, v77
	v_lshlrev_b32_e32 v77, 3, v76
	s_delay_alu instid0(VALU_DEP_2) | instskip(SKIP_4) | instid1(VALU_DEP_2)
	v_mul_lo_u16 v78, v3, 10
	global_load_b64 v[102:103], v77, s[4:5]
	v_mul_u32_u24_e32 v3, 60, v3
	v_sub_nc_u16 v6, v6, v78
	v_mul_lo_u16 v78, v75, 10
	v_and_b32_e32 v6, 0xffff, v6
	s_delay_alu instid0(VALU_DEP_2) | instskip(NEXT) | instid1(VALU_DEP_2)
	v_sub_nc_u16 v78, v5, v78
	v_lshlrev_b32_e32 v79, 3, v6
	s_delay_alu instid0(VALU_DEP_2) | instskip(SKIP_4) | instid1(VALU_DEP_2)
	v_and_b32_e32 v78, 0xffff, v78
	v_lshlrev_b32_e32 v6, 1, v6
	global_load_b64 v[104:105], v79, s[4:5]
	v_and_b32_e32 v77, 0xffff, v2
	v_add3_u32 v3, 0, v3, v6
	v_mul_u32_u24_e32 v77, 0xcccd, v77
	s_delay_alu instid0(VALU_DEP_1) | instskip(SKIP_1) | instid1(VALU_DEP_2)
	v_lshrrev_b32_e32 v5, 19, v77
	v_and_b32_e32 v77, 0xffff, v4
	v_mul_lo_u16 v91, v5, 10
	s_delay_alu instid0(VALU_DEP_2) | instskip(SKIP_1) | instid1(VALU_DEP_3)
	v_mul_u32_u24_e32 v77, 0xcccd, v77
	v_mul_u32_u24_e32 v5, 60, v5
	v_sub_nc_u16 v2, v2, v91
	s_delay_alu instid0(VALU_DEP_3) | instskip(SKIP_1) | instid1(VALU_DEP_3)
	v_lshrrev_b32_e32 v77, 19, v77
	v_lshlrev_b32_e32 v91, 3, v78
	v_and_b32_e32 v79, 0xffff, v2
	s_delay_alu instid0(VALU_DEP_3)
	v_mul_lo_u16 v2, v77, 10
	global_load_b64 v[106:107], v91, s[4:5]
	v_lshlrev_b32_e32 v91, 3, v79
	v_sub_nc_u16 v2, v4, v2
	global_load_b64 v[108:109], v91, s[4:5]
	v_and_b32_e32 v91, 0xffff, v2
	s_delay_alu instid0(VALU_DEP_1)
	v_lshlrev_b32_e32 v2, 3, v91
	global_load_b64 v[110:111], v2, s[4:5]
	ds_load_u16 v4, v51 offset:2000
	ds_load_u16 v112, v51 offset:4000
	;; [unrolled: 1-line block ×8, first 2 shown]
	ds_load_u16 v2, v51
	ds_load_u16 v121, v51 offset:4200
	ds_load_u16 v123, v51 offset:4400
	;; [unrolled: 1-line block ×7, first 2 shown]
	s_wait_loadcnt 0x9
	v_lshrrev_b32_e32 v113, 16, v92
	v_lshrrev_b32_e32 v122, 16, v93
	s_wait_dscnt 0xf
	s_delay_alu instid0(VALU_DEP_2)
	v_mul_f16_e32 v120, v4, v113
	v_mul_f16_e32 v113, v88, v113
	s_wait_dscnt 0xe
	v_mul_f16_e64 v129, v112, v122
	v_mul_f16_e32 v122, v90, v122
	v_fmac_f16_e32 v120, v88, v92
	v_fma_f16 v92, v4, v92, -v113
	s_delay_alu instid0(VALU_DEP_4) | instskip(NEXT) | instid1(VALU_DEP_4)
	v_fmac_f16_e64 v129, v90, v93
	v_fma_f16 v112, v112, v93, -v122
	s_wait_loadcnt 0x8
	v_lshrrev_b32_e32 v88, 16, v94
	v_lshrrev_b32_e32 v4, 16, v95
	s_wait_dscnt 0xd
	s_delay_alu instid0(VALU_DEP_2)
	v_mul_f16_e32 v90, v114, v88
	v_mul_f16_e32 v88, v87, v88
	s_wait_dscnt 0x6
	v_mul_f16_e32 v113, v121, v4
	v_mul_f16_e32 v4, v89, v4
	v_fmac_f16_e32 v90, v87, v94
	v_fma_f16 v87, v114, v94, -v88
	s_delay_alu instid0(VALU_DEP_4) | instskip(NEXT) | instid1(VALU_DEP_4)
	v_fmac_f16_e32 v113, v89, v95
	v_fma_f16 v94, v121, v95, -v4
	s_wait_loadcnt 0x7
	v_lshrrev_b32_e32 v93, 16, v96
	v_lshrrev_b32_e32 v89, 16, v97
	s_delay_alu instid0(VALU_DEP_2) | instskip(SKIP_2) | instid1(VALU_DEP_3)
	v_mul_f16_e32 v88, v115, v93
	v_mul_f16_e32 v4, v86, v93
	s_wait_dscnt 0x5
	v_mul_f16_e32 v95, v123, v89
	v_mul_f16_e32 v89, v84, v89
	v_fmac_f16_e32 v88, v86, v96
	s_wait_loadcnt 0x6
	v_lshrrev_b32_e32 v86, 16, v98
	v_fma_f16 v96, v115, v96, -v4
	v_lshrrev_b32_e32 v4, 16, v99
	v_fmac_f16_e32 v95, v84, v97
	v_fma_f16 v84, v123, v97, -v89
	v_mul_f16_e32 v114, v116, v86
	v_mul_f16_e32 v86, v85, v86
	s_wait_dscnt 0x4
	v_mul_f16_e32 v89, v124, v4
	v_mul_f16_e32 v4, v82, v4
	v_fmac_f16_e32 v114, v85, v98
	s_wait_loadcnt 0x5
	v_lshrrev_b32_e32 v85, 16, v100
	v_fmac_f16_e32 v89, v82, v99
	v_fma_f16 v97, v124, v99, -v4
	ds_load_u16 v99, v51 offset:5000
	v_fma_f16 v86, v116, v98, -v86
	v_mul_f16_e32 v98, v117, v85
	v_mul_f16_e32 v4, v83, v85
	v_lshrrev_b32_e32 v82, 16, v101
	s_delay_alu instid0(VALU_DEP_3) | instskip(NEXT) | instid1(VALU_DEP_3)
	v_fmac_f16_e32 v98, v83, v100
	v_fma_f16 v83, v117, v100, -v4
	ds_load_u16 v100, v51 offset:5200
	s_wait_dscnt 0x5
	v_mul_f16_e32 v85, v125, v82
	v_mul_f16_e32 v82, v80, v82
	s_wait_loadcnt 0x4
	v_lshrrev_b32_e32 v93, 16, v102
	v_lshrrev_b32_e32 v115, 16, v103
	v_fmac_f16_e32 v85, v80, v101
	v_fma_f16 v82, v125, v101, -v82
	s_delay_alu instid0(VALU_DEP_4) | instskip(SKIP_3) | instid1(VALU_DEP_3)
	v_mul_f16_e32 v80, v118, v93
	v_mul_f16_e32 v101, v81, v93
	s_wait_dscnt 0x1
	v_mul_f16_e32 v122, v99, v115
	v_fmac_f16_e32 v80, v81, v102
	ds_load_u16 v81, v51 offset:5400
	ds_load_u16 v116, v51 offset:5600
	;; [unrolled: 1-line block ×3, first 2 shown]
	ds_load_u16 v4, v52
	ds_load_u16 v93, v53
	ds_load_u16 v121, v54
	v_fma_f16 v101, v118, v102, -v101
	v_mul_f16_e32 v102, v73, v115
	v_fmac_f16_e32 v122, v73, v103
	s_delay_alu instid0(VALU_DEP_2) | instskip(SKIP_3) | instid1(VALU_DEP_2)
	v_fma_f16 v99, v99, v103, -v102
	s_wait_loadcnt 0x3
	v_lshrrev_b32_e32 v123, 16, v104
	v_lshrrev_b32_e32 v115, 16, v105
	v_mul_f16_e32 v73, v119, v123
	v_mul_f16_e32 v118, v66, v123
	s_wait_dscnt 0x6
	s_delay_alu instid0(VALU_DEP_3) | instskip(NEXT) | instid1(VALU_DEP_3)
	v_mul_f16_e32 v102, v100, v115
	v_fmac_f16_e32 v73, v66, v104
	s_delay_alu instid0(VALU_DEP_3) | instskip(SKIP_1) | instid1(VALU_DEP_4)
	v_fma_f16 v66, v119, v104, -v118
	v_mul_f16_e32 v104, v71, v115
	v_fmac_f16_e32 v102, v71, v105
	s_delay_alu instid0(VALU_DEP_2) | instskip(SKIP_3) | instid1(VALU_DEP_2)
	v_fma_f16 v100, v100, v105, -v104
	s_wait_loadcnt 0x2
	v_lshrrev_b32_e32 v103, 16, v106
	v_lshrrev_b32_e32 v115, 16, v107
	v_mul_f16_e32 v71, v126, v103
	v_mul_f16_e32 v103, v67, v103
	s_delay_alu instid0(VALU_DEP_3)
	v_mul_f16_e32 v105, v68, v115
	s_wait_loadcnt 0x1
	v_lshrrev_b32_e32 v104, 16, v108
	v_fmac_f16_e32 v71, v67, v106
	s_wait_dscnt 0x5
	v_mul_f16_e32 v67, v81, v115
	v_fma_f16 v103, v126, v106, -v103
	v_mul_f16_e32 v106, v127, v104
	v_lshrrev_b32_e32 v115, 16, v109
	v_fma_f16 v81, v81, v107, -v105
	v_fmac_f16_e32 v67, v68, v107
	v_mul_f16_e32 v68, v64, v104
	v_fmac_f16_e32 v106, v64, v108
	s_wait_dscnt 0x4
	v_mul_f16_e32 v64, v116, v115
	s_wait_loadcnt 0x0
	v_lshrrev_b32_e32 v104, 16, v110
	v_mul_f16_e32 v105, v65, v115
	v_lshrrev_b32_e32 v107, 16, v111
	v_fma_f16 v68, v127, v108, -v68
	v_fmac_f16_e32 v64, v65, v109
	v_mul_f16_e64 v65, v128, v104
	v_mul_f16_e32 v104, v62, v104
	v_fma_f16 v105, v116, v109, -v105
	s_wait_dscnt 0x3
	v_mul_f16_e32 v108, v117, v107
	v_mul_f16_e32 v107, v63, v107
	v_fmac_f16_e32 v65, v62, v110
	v_fma_f16 v62, v128, v110, -v104
	ds_load_u16 v110, v55
	v_add_f16_e64 v104, v120, v129
	v_add_f16_e32 v109, v92, v112
	v_fmac_f16_e32 v108, v63, v111
	v_fma_f16 v63, v117, v111, -v107
	v_add_f16_e32 v107, v17, v120
	v_fmac_f16_e32 v17, -0.5, v104
	v_sub_f16_e32 v104, v92, v112
	v_add_f16_e32 v92, v2, v92
	v_fmac_f16_e32 v2, -0.5, v109
	v_sub_f16_e64 v109, v120, v129
	v_sub_f16_e32 v116, v87, v94
	v_fmamk_f16 v111, v104, 0xbaee, v17
	v_fmac_f16_e32 v17, 0x3aee, v104
	v_add_f16_e32 v104, v90, v113
	v_fmamk_f16 v115, v109, 0x3aee, v2
	v_fmac_f16_e32 v2, 0xbaee, v109
	ds_load_u16 v109, v56
	v_add_f16_e32 v112, v92, v112
	v_add_f16_e32 v92, v19, v90
	v_fmac_f16_e32 v19, -0.5, v104
	v_add_f16_e32 v104, v87, v94
	ds_load_u16 v21, v21
	ds_load_u16 v22, v22
	;; [unrolled: 1-line block ×4, first 2 shown]
	s_wait_dscnt 0x5
	v_add_f16_e32 v57, v110, v87
	v_sub_f16_e32 v87, v90, v113
	v_add_f16_e32 v59, v92, v113
	v_fmac_f16_e32 v110, -0.5, v104
	v_add_f16_e32 v92, v16, v88
	v_add_f16_e32 v94, v57, v94
	;; [unrolled: 1-line block ×3, first 2 shown]
	v_sub_f16_e32 v88, v88, v95
	v_fmamk_f16 v104, v87, 0x3aee, v110
	v_fmac_f16_e32 v110, 0xbaee, v87
	v_add_f16_e32 v87, v96, v84
	v_fmac_f16_e32 v16, -0.5, v57
	v_sub_f16_e32 v57, v96, v84
	v_fmamk_f16 v90, v116, 0xbaee, v19
	s_wait_dscnt 0x4
	v_add_f16_e32 v96, v109, v96
	v_fmac_f16_e32 v109, -0.5, v87
	v_add_f16_e32 v87, v92, v95
	v_fmamk_f16 v92, v57, 0xbaee, v16
	v_fmac_f16_e32 v16, 0x3aee, v57
	v_add_f16_e32 v57, v114, v89
	v_add_f16_e32 v95, v96, v84
	v_fmamk_f16 v96, v88, 0x3aee, v109
	v_fmac_f16_e32 v109, 0xbaee, v88
	v_add_f16_e32 v84, v86, v97
	v_add_f16_e32 v88, v18, v114
	v_fmac_f16_e32 v18, -0.5, v57
	v_sub_f16_e32 v57, v86, v97
	v_add_f16_e32 v86, v4, v86
	v_fmac_f16_e32 v4, -0.5, v84
	v_add_f16_e32 v84, v88, v89
	v_sub_f16_e32 v88, v114, v89
	v_fmamk_f16 v89, v57, 0xbaee, v18
	v_fmac_f16_e32 v18, 0x3aee, v57
	v_add_f16_e32 v57, v98, v85
	v_add_f16_e32 v97, v86, v97
	v_fmamk_f16 v113, v88, 0x3aee, v4
	v_fmac_f16_e32 v4, 0xbaee, v88
	v_add_f16_e32 v86, v83, v82
	v_add_f16_e32 v88, v15, v98
	v_fmac_f16_e32 v15, -0.5, v57
	v_sub_f16_e32 v57, v83, v82
	s_wait_dscnt 0x3
	v_add_f16_e32 v83, v21, v83
	v_fmac_f16_e32 v21, -0.5, v86
	v_add_f16_e32 v86, v88, v85
	v_sub_f16_e32 v85, v98, v85
	v_fmamk_f16 v88, v57, 0xbaee, v15
	v_fmac_f16_e32 v15, 0x3aee, v57
	v_add_f16_e32 v57, v80, v122
	v_add_f16_e32 v98, v83, v82
	;; [unrolled: 1-line block ×4, first 2 shown]
	v_fmamk_f16 v114, v85, 0x3aee, v21
	v_fmac_f16_e32 v11, -0.5, v57
	v_sub_f16_e32 v57, v101, v99
	v_fmac_f16_e32 v21, 0xbaee, v85
	s_wait_dscnt 0x2
	v_add_f16_e32 v85, v22, v101
	v_fmac_f16_e32 v22, -0.5, v82
	v_add_f16_e32 v82, v83, v122
	v_sub_f16_e32 v80, v80, v122
	v_fmamk_f16 v83, v57, 0xbaee, v11
	v_fmac_f16_e32 v11, 0x3aee, v57
	v_add_f16_e32 v57, v73, v102
	v_add_f16_e32 v99, v85, v99
	v_fmamk_f16 v101, v80, 0x3aee, v22
	v_fmac_f16_e32 v22, 0xbaee, v80
	v_add_f16_e32 v80, v66, v100
	v_add_f16_e32 v85, v14, v73
	v_fmac_f16_e32 v14, -0.5, v57
	v_sub_f16_e32 v57, v66, v100
	v_add_f16_e32 v66, v93, v66
	v_fmac_f16_e32 v93, -0.5, v80
	v_add_f16_e32 v80, v85, v102
	v_sub_f16_e32 v73, v73, v102
	v_fmamk_f16 v85, v57, 0xbaee, v14
	v_fmac_f16_e32 v14, 0x3aee, v57
	v_add_f16_e32 v57, v71, v67
	v_add_f16_e32 v100, v66, v100
	v_fmamk_f16 v102, v73, 0x3aee, v93
	v_fmac_f16_e32 v93, 0xbaee, v73
	v_add_f16_e32 v66, v103, v81
	v_add_f16_e32 v73, v9, v71
	v_fmac_f16_e32 v9, -0.5, v57
	v_sub_f16_e32 v57, v103, v81
	s_wait_dscnt 0x1
	v_add_f16_e32 v103, v117, v103
	v_fmac_f16_e32 v117, -0.5, v66
	v_add_f16_e32 v66, v73, v67
	v_sub_f16_e32 v67, v71, v67
	v_fmamk_f16 v71, v57, 0xbaee, v9
	v_fmac_f16_e32 v9, 0x3aee, v57
	v_add_f16_e32 v57, v106, v64
	v_fmac_f16_e32 v19, 0x3aee, v116
	v_fmamk_f16 v116, v67, 0x3aee, v117
	v_fmac_f16_e32 v117, 0xbaee, v67
	v_add_f16_e32 v67, v68, v105
	v_add_f16_e32 v73, v1, v106
	v_fmac_f16_e32 v1, -0.5, v57
	v_sub_f16_e32 v57, v68, v105
	s_wait_dscnt 0x0
	v_add_f16_e32 v68, v118, v68
	v_fmac_f16_e32 v118, -0.5, v67
	v_add_f16_e32 v67, v73, v64
	v_sub_f16_e32 v64, v106, v64
	v_fmamk_f16 v73, v57, 0xbaee, v1
	v_fmac_f16_e32 v1, 0x3aee, v57
	v_add_f16_e32 v57, v65, v108
	v_add_f16_e32 v105, v68, v105
	v_fmamk_f16 v106, v64, 0x3aee, v118
	v_fmac_f16_e32 v118, 0xbaee, v64
	v_add_f16_e32 v64, v62, v63
	v_add_f16_e32 v68, v10, v65
	v_fmac_f16_e32 v10, -0.5, v57
	v_add_f16_e32 v57, v121, v62
	v_sub_f16_e32 v62, v62, v63
	v_fmac_f16_e32 v121, -0.5, v64
	v_add_f16_e32 v64, v68, v108
	v_add_f16_e64 v107, v107, v129
	v_add_f16_e32 v63, v57, v63
	v_fmamk_f16 v68, v62, 0xbaee, v10
	v_fmac_f16_e32 v10, 0x3aee, v62
	v_lshlrev_b32_e32 v62, 1, v69
	v_lshlrev_b32_e32 v57, 1, v70
	global_wb scope:SCOPE_SE
	s_barrier_signal -1
	s_barrier_wait -1
	v_add3_u32 v23, 0, v58, v62
	v_mul_u32_u24_e32 v58, 60, v60
	global_inv scope:SCOPE_SE
	ds_store_b16 v20, v107
	ds_store_b16 v20, v111 offset:20
	ds_store_b16 v20, v17 offset:40
	ds_store_b16 v23, v59
	ds_store_b16 v23, v90 offset:20
	ds_store_b16 v23, v19 offset:40
	v_add3_u32 v17, 0, v58, v57
	v_lshlrev_b32_e32 v19, 1, v74
	v_mul_u32_u24_e32 v58, 60, v61
	v_lshlrev_b32_e32 v57, 1, v76
	v_lshlrev_b32_e32 v59, 1, v78
	ds_store_b16 v17, v87
	ds_store_b16 v17, v92 offset:20
	ds_store_b16 v17, v16 offset:40
	v_mul_u32_u24_e32 v16, 60, v72
	v_add3_u32 v19, 0, v58, v19
	v_lshrrev_b16 v58, 12, v0
	ds_store_b16 v19, v84
	ds_store_b16 v19, v89 offset:20
	ds_store_b16 v19, v18 offset:40
	v_mul_lo_u16 v0, v58, 30
	ds_store_b16 v7, v86
	ds_store_b16 v7, v88 offset:20
	ds_store_b16 v7, v15 offset:40
	v_mul_u32_u24_e32 v15, 60, v75
	v_add3_u32 v8, 0, v16, v57
	v_lshlrev_b32_e32 v60, 1, v79
	v_sub_nc_u16 v0, v46, v0
	v_sub_f16_e32 v65, v65, v108
	v_add3_u32 v6, 0, v15, v59
	v_lshlrev_b32_e32 v61, 1, v91
	ds_store_b16 v8, v82
	ds_store_b16 v8, v83 offset:20
	ds_store_b16 v8, v11 offset:40
	v_and_b32_e32 v59, 0xff, v0
	v_mul_u32_u24_e32 v11, 60, v77
	v_add_f16_e32 v103, v103, v81
	v_add3_u32 v5, 0, v5, v60
	v_fmamk_f16 v108, v65, 0x3aee, v121
	v_mul_u32_u24_e32 v0, 9, v59
	v_fmac_f16_e32 v121, 0xbaee, v65
	ds_store_b16 v3, v80
	ds_store_b16 v3, v85 offset:20
	ds_store_b16 v3, v14 offset:40
	v_add3_u32 v11, 0, v11, v61
	ds_store_b16 v6, v66
	ds_store_b16 v6, v71 offset:20
	ds_store_b16 v6, v9 offset:40
	ds_store_b16 v5, v67
	ds_store_b16 v5, v73 offset:20
	ds_store_b16 v5, v1 offset:40
	ds_store_b16 v11, v64
	ds_store_b16 v11, v68 offset:20
	ds_store_b16 v11, v10 offset:40
	global_wb scope:SCOPE_SE
	s_wait_dscnt 0x0
	s_barrier_signal -1
	s_barrier_wait -1
	global_inv scope:SCOPE_SE
	ds_load_u16 v65, v51
	ds_load_u16 v79, v51 offset:800
	ds_load_u16 v78, v51 offset:2600
	;; [unrolled: 1-line block ×4, first 2 shown]
	ds_load_u16 v89, v54
	ds_load_u16 v64, v55
	;; [unrolled: 1-line block ×3, first 2 shown]
	ds_load_u16 v88, v51 offset:2400
	ds_load_u16 v71, v51 offset:2200
	;; [unrolled: 1-line block ×19, first 2 shown]
	ds_load_u16 v91, v53
	ds_load_u16 v92, v52
	ds_load_u16 v66, v51 offset:5800
	global_wb scope:SCOPE_SE
	s_wait_dscnt 0x0
	s_barrier_signal -1
	s_barrier_wait -1
	global_inv scope:SCOPE_SE
	ds_store_b16 v20, v112
	ds_store_b16 v20, v115 offset:20
	ds_store_b16 v20, v2 offset:40
	ds_store_b16 v23, v94
	ds_store_b16 v23, v104 offset:20
	ds_store_b16 v23, v110 offset:40
	ds_store_b16 v17, v95
	ds_store_b16 v17, v96 offset:20
	ds_store_b16 v17, v109 offset:40
	ds_store_b16 v19, v97
	ds_store_b16 v19, v113 offset:20
	ds_store_b16 v19, v4 offset:40
	ds_store_b16 v7, v98
	ds_store_b16 v7, v114 offset:20
	ds_store_b16 v7, v21 offset:40
	ds_store_b16 v8, v99
	ds_store_b16 v8, v101 offset:20
	ds_store_b16 v8, v22 offset:40
	ds_store_b16 v3, v100
	ds_store_b16 v3, v102 offset:20
	ds_store_b16 v3, v93 offset:40
	ds_store_b16 v6, v103
	ds_store_b16 v6, v116 offset:20
	ds_store_b16 v6, v117 offset:40
	v_lshlrev_b32_e32 v93, 2, v0
	v_mul_lo_u16 v4, 0x89, v13
	ds_store_b16 v5, v105
	ds_store_b16 v5, v106 offset:20
	ds_store_b16 v5, v118 offset:40
	ds_store_b16 v11, v63
	ds_store_b16 v11, v108 offset:20
	ds_store_b16 v11, v121 offset:40
	global_wb scope:SCOPE_SE
	s_wait_dscnt 0x0
	s_barrier_signal -1
	s_barrier_wait -1
	global_inv scope:SCOPE_SE
	s_clause 0x1
	global_load_b128 v[0:3], v93, s[4:5] offset:80
	global_load_b128 v[8:11], v93, s[4:5] offset:96
	v_lshrrev_b16 v61, 12, v4
	v_lshrrev_b32_e32 v62, 20, v12
	v_lshlrev_b32_e32 v59, 1, v59
	s_delay_alu instid0(VALU_DEP_3) | instskip(NEXT) | instid1(VALU_DEP_3)
	v_mul_lo_u16 v4, v61, 30
	v_mul_lo_u16 v12, v62, 30
	s_delay_alu instid0(VALU_DEP_2) | instskip(NEXT) | instid1(VALU_DEP_2)
	v_sub_nc_u16 v4, v48, v4
	v_sub_nc_u16 v16, v47, v12
	s_delay_alu instid0(VALU_DEP_2) | instskip(NEXT) | instid1(VALU_DEP_2)
	v_and_b32_e32 v60, 0xff, v4
	v_and_b32_e32 v63, 0xffff, v16
	s_delay_alu instid0(VALU_DEP_2) | instskip(NEXT) | instid1(VALU_DEP_2)
	v_mul_u32_u24_e32 v4, 9, v60
	v_mul_u32_u24_e32 v16, 9, v63
	v_lshlrev_b32_e32 v60, 1, v60
	s_delay_alu instid0(VALU_DEP_3) | instskip(NEXT) | instid1(VALU_DEP_3)
	v_lshlrev_b32_e32 v94, 2, v4
	v_lshlrev_b32_e32 v96, 2, v16
	s_clause 0x6
	global_load_b128 v[4:7], v94, s[4:5] offset:80
	global_load_b128 v[12:15], v94, s[4:5] offset:96
	;; [unrolled: 1-line block ×4, first 2 shown]
	global_load_b32 v95, v93, s[4:5] offset:112
	global_load_b32 v94, v94, s[4:5] offset:112
	;; [unrolled: 1-line block ×3, first 2 shown]
	ds_load_u16 v102, v52
	ds_load_u16 v101, v53
	;; [unrolled: 1-line block ×3, first 2 shown]
	ds_load_u16 v99, v51 offset:2400
	ds_load_u16 v98, v51 offset:3600
	ds_load_u16 v93, v55
	ds_load_u16 v97, v56
	ds_load_u16 v105, v51 offset:5800
	ds_load_u16 v107, v51 offset:3000
	s_wait_loadcnt 0x8
	v_lshrrev_b32_e32 v104, 16, v0
	v_lshrrev_b32_e32 v103, 16, v1
	v_lshrrev_b32_e32 v108, 16, v2
	s_wait_loadcnt 0x7
	v_lshrrev_b32_e32 v113, 16, v9
	v_lshrrev_b32_e32 v114, 16, v10
	s_wait_dscnt 0x8
	v_mul_f16_e32 v106, v102, v104
	v_mul_f16_e32 v104, v92, v104
	s_wait_dscnt 0x7
	v_mul_f16_e32 v109, v101, v103
	v_lshrrev_b32_e32 v115, 16, v11
	v_fmac_f16_e32 v106, v92, v0
	v_lshrrev_b32_e32 v92, 16, v3
	v_fma_f16 v102, v102, v0, -v104
	ds_load_u16 v104, v51 offset:4200
	v_mul_f16_e32 v0, v91, v103
	v_fmac_f16_e32 v109, v91, v1
	s_wait_dscnt 0x7
	v_mul_f16_e32 v91, v100, v108
	v_mul_f16_e32 v103, v89, v108
	s_wait_dscnt 0x6
	v_mul_f16_e32 v110, v99, v92
	v_fma_f16 v101, v101, v1, -v0
	v_mul_f16_e32 v0, v88, v92
	v_lshrrev_b32_e32 v1, 16, v8
	v_fmac_f16_e32 v91, v89, v2
	ds_load_u16 v89, v51 offset:4800
	ds_load_u16 v108, v51 offset:2200
	v_fma_f16 v2, v100, v2, -v103
	v_fmac_f16_e32 v110, v88, v3
	ds_load_u16 v88, v51 offset:800
	v_fma_f16 v3, v99, v3, -v0
	ds_load_u16 v0, v51 offset:2600
	ds_load_u16 v92, v51 offset:3200
	;; [unrolled: 1-line block ×6, first 2 shown]
	s_wait_dscnt 0xa
	v_mul_f16_e32 v112, v107, v1
	v_mul_f16_e32 v1, v90, v1
	ds_load_u16 v116, v51 offset:1400
	s_wait_dscnt 0xa
	v_mul_f16_e32 v121, v104, v114
	v_fmac_f16_e32 v112, v90, v8
	v_mul_f16_e32 v90, v98, v113
	v_fma_f16 v8, v107, v8, -v1
	ds_load_u16 v1, v51 offset:4400
	ds_load_u16 v107, v51 offset:5000
	;; [unrolled: 1-line block ×7, first 2 shown]
	v_mul_f16_e32 v113, v86, v113
	v_fmac_f16_e32 v90, v86, v9
	v_mul_f16_e32 v86, v85, v114
	v_fmac_f16_e32 v121, v85, v10
	s_wait_loadcnt 0x6
	v_lshrrev_b32_e32 v85, 16, v4
	s_wait_dscnt 0x10
	v_mul_f16_e32 v114, v89, v115
	v_fma_f16 v9, v98, v9, -v113
	v_fma_f16 v10, v104, v10, -v86
	v_lshrrev_b32_e32 v86, 16, v5
	v_mul_f16_e32 v98, v87, v115
	s_wait_dscnt 0xe
	v_mul_f16_e32 v104, v88, v85
	v_mul_f16_e32 v85, v79, v85
	v_lshrrev_b32_e32 v115, 16, v6
	s_wait_dscnt 0x7
	v_mul_f16_e32 v113, v116, v86
	v_mul_f16_e32 v86, v84, v86
	v_fmac_f16_e32 v104, v79, v4
	v_fma_f16 v79, v88, v4, -v85
	v_lshrrev_b32_e32 v4, 16, v7
	v_fmac_f16_e32 v113, v84, v5
	s_wait_dscnt 0x0
	v_mul_f16_e32 v85, v122, v115
	v_fma_f16 v84, v116, v5, -v86
	v_mul_f16_e32 v5, v82, v115
	v_mul_f16_e32 v86, v0, v4
	;; [unrolled: 1-line block ×3, first 2 shown]
	v_fmac_f16_e32 v85, v82, v6
	s_wait_loadcnt 0x5
	v_lshrrev_b32_e32 v82, 16, v12
	v_fma_f16 v88, v122, v6, -v5
	v_lshrrev_b32_e32 v5, 16, v13
	v_fmac_f16_e32 v114, v87, v11
	v_fma_f16 v11, v89, v11, -v98
	ds_load_u16 v87, v51 offset:1600
	ds_load_u16 v89, v51 offset:1000
	ds_load_u16 v98, v51
	v_fmac_f16_e32 v86, v78, v7
	v_mul_f16_e32 v78, v92, v82
	v_fma_f16 v115, v0, v7, -v4
	v_mul_f16_e32 v0, v83, v82
	v_lshrrev_b32_e32 v4, 16, v14
	v_mul_f16_e32 v82, v99, v5
	v_mul_f16_e32 v5, v81, v5
	v_fmac_f16_e32 v78, v83, v12
	v_fma_f16 v83, v92, v12, -v0
	v_mul_f16_e32 v92, v1, v4
	v_fmac_f16_e32 v82, v81, v13
	v_lshrrev_b32_e32 v0, 16, v15
	v_fma_f16 v81, v99, v13, -v5
	v_mul_f16_e32 v4, v76, v4
	s_wait_loadcnt 0x4
	v_lshrrev_b32_e32 v5, 16, v16
	v_fmac_f16_e32 v92, v76, v14
	v_mul_f16_e32 v76, v107, v0
	v_mul_f16_e32 v6, v80, v0
	v_fma_f16 v99, v1, v14, -v4
	v_lshrrev_b32_e32 v1, 16, v17
	v_mul_f16_e32 v4, v77, v5
	s_wait_dscnt 0x1
	v_mul_f16_e32 v0, v89, v5
	v_fmac_f16_e32 v76, v80, v15
	v_fma_f16 v80, v107, v15, -v6
	v_mul_f16_e32 v107, v87, v1
	v_lshrrev_b32_e32 v5, 16, v18
	v_mul_f16_e32 v6, v74, v1
	v_fma_f16 v1, v89, v16, -v4
	v_lshrrev_b32_e32 v4, 16, v19
	v_fmac_f16_e32 v0, v77, v16
	v_mul_f16_e32 v15, v108, v5
	v_fmac_f16_e32 v107, v74, v17
	v_fma_f16 v74, v87, v17, -v6
	v_mul_f16_e32 v77, v111, v4
	v_mul_f16_e32 v4, v75, v4
	;; [unrolled: 1-line block ×3, first 2 shown]
	s_wait_loadcnt 0x3
	v_lshrrev_b32_e32 v6, 16, v20
	v_fmac_f16_e32 v15, v71, v18
	v_lshrrev_b32_e32 v7, 16, v23
	v_fma_f16 v71, v111, v19, -v4
	v_lshrrev_b32_e32 v4, 16, v22
	v_fma_f16 v14, v108, v18, -v5
	v_mul_f16_e32 v17, v103, v6
	v_lshrrev_b32_e32 v5, 16, v21
	v_mul_f16_e32 v6, v72, v6
	v_mul_f16_e32 v18, v120, v4
	;; [unrolled: 1-line block ×3, first 2 shown]
	v_fmac_f16_e32 v17, v72, v20
	v_mul_f16_e32 v72, v100, v5
	v_mul_f16_e32 v5, v69, v5
	v_fma_f16 v12, v103, v20, -v6
	v_mul_f16_e32 v6, v70, v7
	v_fma_f16 v13, v120, v22, -v4
	s_wait_loadcnt 0x1
	v_lshrrev_b32_e32 v4, 16, v94
	v_add_f16_e32 v16, v110, v90
	v_fmac_f16_e32 v77, v75, v19
	v_fmac_f16_e32 v72, v69, v21
	v_fma_f16 v75, v100, v21, -v5
	v_fmac_f16_e32 v18, v73, v22
	v_lshrrev_b32_e32 v5, 16, v95
	v_mul_f16_e32 v73, v117, v7
	v_fma_f16 v87, v117, v23, -v6
	v_mul_f16_e32 v89, v118, v4
	s_wait_loadcnt 0x0
	v_lshrrev_b32_e32 v6, 16, v96
	v_mul_f16_e32 v4, v67, v4
	v_add_f16_e32 v19, v65, v109
	v_fma_f16 v69, -0.5, v16, v65
	v_sub_f16_e32 v20, v101, v11
	v_add_f16_e32 v16, v109, v114
	v_mul_f16_e32 v7, v119, v5
	v_fmac_f16_e32 v73, v70, v23
	v_fmac_f16_e32 v89, v67, v94
	v_mul_f16_e32 v70, v105, v6
	v_fma_f16 v94, v118, v94, -v4
	v_add_f16_e32 v4, v19, v110
	v_fmamk_f16 v67, v20, 0xbb9c, v69
	v_sub_f16_e32 v19, v3, v9
	v_mul_f16_e32 v6, v66, v6
	v_sub_f16_e32 v21, v109, v110
	v_fmac_f16_e32 v65, -0.5, v16
	v_sub_f16_e32 v22, v114, v90
	v_fmac_f16_e32 v69, 0x3b9c, v20
	v_mul_f16_e32 v5, v68, v5
	v_fmac_f16_e32 v7, v68, v95
	v_add_f16_e32 v4, v4, v90
	v_fma_f16 v16, v105, v96, -v6
	v_sub_f16_e32 v6, v110, v109
	v_sub_f16_e32 v23, v90, v114
	v_fmac_f16_e32 v67, 0xb8b4, v19
	v_add_f16_e32 v21, v21, v22
	v_fmamk_f16 v68, v19, 0x3b9c, v65
	v_fmac_f16_e32 v69, 0x38b4, v19
	s_wait_dscnt 0x0
	v_add_f16_e32 v22, v98, v101
	v_fmac_f16_e32 v65, 0xbb9c, v19
	v_add_f16_e32 v19, v3, v9
	v_fma_f16 v5, v119, v95, -v5
	v_fmac_f16_e32 v70, v66, v96
	v_add_f16_e32 v6, v6, v23
	v_add_f16_e32 v66, v4, v114
	v_fmac_f16_e32 v68, 0xb8b4, v20
	v_add_f16_e32 v4, v22, v3
	v_fma_f16 v95, -0.5, v19, v98
	v_sub_f16_e32 v19, v109, v114
	v_fmac_f16_e32 v65, 0x38b4, v20
	v_add_f16_e32 v20, v101, v11
	v_fmac_f16_e32 v67, 0x34f2, v21
	v_fmac_f16_e32 v69, 0x34f2, v21
	;; [unrolled: 1-line block ×3, first 2 shown]
	v_add_f16_e32 v4, v4, v9
	v_fmamk_f16 v96, v19, 0x3b9c, v95
	v_sub_f16_e32 v21, v110, v90
	v_sub_f16_e32 v22, v101, v3
	;; [unrolled: 1-line block ×3, first 2 shown]
	v_fmac_f16_e32 v65, 0x34f2, v6
	v_fmac_f16_e32 v98, -0.5, v20
	v_fmac_f16_e32 v95, 0xbb9c, v19
	v_sub_f16_e32 v3, v3, v101
	v_sub_f16_e32 v6, v9, v11
	v_add_f16_e32 v9, v106, v91
	v_add_f16_e32 v90, v4, v11
	v_fmac_f16_e32 v96, 0x38b4, v21
	v_add_f16_e32 v4, v22, v23
	v_fmamk_f16 v100, v21, 0xbb9c, v98
	v_fmac_f16_e32 v95, 0xb8b4, v21
	v_add_f16_e32 v3, v3, v6
	v_fmac_f16_e32 v98, 0x3b9c, v21
	v_add_f16_e32 v6, v9, v112
	v_add_f16_e32 v9, v112, v121
	v_fmac_f16_e32 v96, 0x34f2, v4
	v_fmac_f16_e32 v100, 0x38b4, v19
	;; [unrolled: 1-line block ×4, first 2 shown]
	v_add_f16_e32 v4, v6, v121
	v_add_f16_e32 v6, v91, v7
	v_fma_f16 v9, -0.5, v9, v106
	v_sub_f16_e32 v11, v2, v5
	v_fmac_f16_e32 v100, 0x34f2, v3
	v_fmac_f16_e32 v98, 0x34f2, v3
	v_sub_f16_e32 v3, v8, v10
	v_fmac_f16_e32 v106, -0.5, v6
	v_sub_f16_e32 v6, v91, v112
	v_sub_f16_e32 v19, v7, v121
	v_fmamk_f16 v101, v11, 0xbb9c, v9
	v_fmac_f16_e32 v9, 0x3b9c, v11
	v_fmamk_f16 v103, v3, 0x3b9c, v106
	v_sub_f16_e32 v20, v112, v91
	v_add_f16_e32 v6, v6, v19
	v_fmac_f16_e32 v101, 0xb8b4, v3
	v_fmac_f16_e32 v9, 0x38b4, v3
	v_sub_f16_e32 v19, v121, v7
	v_fmac_f16_e32 v106, 0xbb9c, v3
	v_add_f16_e32 v3, v8, v10
	v_fmac_f16_e32 v101, 0x34f2, v6
	v_fmac_f16_e32 v9, 0x34f2, v6
	v_add_f16_e32 v6, v2, v5
	v_add_f16_e32 v105, v4, v7
	v_fmac_f16_e32 v103, 0xb8b4, v11
	v_add_f16_e32 v4, v20, v19
	v_fmac_f16_e32 v106, 0x38b4, v11
	v_fma_f16 v3, -0.5, v3, v102
	v_sub_f16_e32 v7, v91, v7
	v_add_f16_e32 v11, v102, v2
	v_sub_f16_e32 v19, v112, v121
	v_fmac_f16_e32 v102, -0.5, v6
	v_fmac_f16_e32 v103, 0x34f2, v4
	v_fmac_f16_e32 v106, 0x34f2, v4
	v_fmamk_f16 v4, v7, 0x3b9c, v3
	v_sub_f16_e32 v6, v2, v8
	v_sub_f16_e32 v20, v5, v10
	v_fmamk_f16 v23, v19, 0xbb9c, v102
	v_sub_f16_e32 v2, v8, v2
	v_sub_f16_e32 v21, v10, v5
	v_fmac_f16_e32 v102, 0x3b9c, v19
	v_fmac_f16_e32 v4, 0x38b4, v19
	v_add_f16_e32 v6, v6, v20
	v_fmac_f16_e32 v23, 0x38b4, v7
	v_add_f16_e32 v2, v2, v21
	v_fmac_f16_e32 v3, 0xbb9c, v7
	v_fmac_f16_e32 v102, 0xb8b4, v7
	v_add_f16_e32 v7, v11, v8
	v_fmac_f16_e32 v4, 0x34f2, v6
	v_fmac_f16_e32 v23, 0x34f2, v2
	;; [unrolled: 1-line block ×4, first 2 shown]
	v_add_f16_e32 v2, v7, v10
	v_mul_f16_e32 v7, 0xb8b4, v4
	v_mul_f16_e32 v8, 0xbb9c, v23
	v_fmac_f16_e32 v3, 0x34f2, v6
	v_mul_f16_e32 v108, 0x3a79, v4
	v_mul_f16_e32 v109, 0x34f2, v23
	;; [unrolled: 1-line block ×3, first 2 shown]
	v_fmac_f16_e32 v7, 0x3a79, v101
	v_fmac_f16_e32 v8, 0x34f2, v103
	v_mul_f16_e32 v91, 0xb8b4, v3
	v_mul_f16_e32 v110, 0xba79, v3
	v_fmac_f16_e32 v108, 0x38b4, v101
	v_fmac_f16_e32 v109, 0x3b9c, v103
	;; [unrolled: 1-line block ×3, first 2 shown]
	v_add_f16_e32 v20, v67, v7
	v_add_f16_e32 v21, v68, v8
	v_fmac_f16_e32 v91, 0xba79, v9
	v_mul_f16_e32 v102, 0xb4f2, v102
	v_fmac_f16_e32 v110, 0x38b4, v9
	v_add_f16_e32 v3, v96, v108
	v_add_f16_e32 v4, v100, v109
	v_sub_f16_e32 v67, v67, v7
	v_add_f16_e32 v7, v86, v82
	v_sub_f16_e32 v68, v68, v8
	v_sub_f16_e32 v8, v96, v108
	;; [unrolled: 1-line block ×5, first 2 shown]
	v_add_f16_e32 v103, v113, v76
	v_add_f16_e32 v11, v2, v5
	;; [unrolled: 1-line block ×4, first 2 shown]
	v_fmac_f16_e32 v102, 0x3b9c, v106
	v_sub_f16_e32 v65, v65, v10
	v_sub_f16_e32 v69, v69, v91
	v_add_f16_e32 v10, v64, v113
	v_fma_f16 v91, -0.5, v7, v64
	v_sub_f16_e32 v101, v84, v80
	v_add_f16_e32 v96, v96, v100
	v_fmac_f16_e32 v64, -0.5, v103
	v_sub_f16_e32 v100, v86, v113
	v_sub_f16_e32 v103, v82, v76
	v_add_f16_e32 v2, v90, v11
	v_add_f16_e32 v5, v98, v102
	v_sub_f16_e32 v7, v90, v11
	v_add_f16_e32 v11, v10, v86
	v_fmamk_f16 v90, v101, 0xbb9c, v91
	v_sub_f16_e32 v10, v98, v102
	v_sub_f16_e32 v98, v115, v81
	v_fmac_f16_e32 v91, 0x3b9c, v101
	v_add_f16_e32 v100, v100, v103
	v_add_f16_e32 v103, v93, v84
	;; [unrolled: 1-line block ×4, first 2 shown]
	v_fmac_f16_e32 v90, 0xb8b4, v98
	v_sub_f16_e32 v11, v95, v110
	v_fmamk_f16 v95, v98, 0x3b9c, v64
	v_fmac_f16_e32 v91, 0x38b4, v98
	v_fmac_f16_e32 v64, 0xbb9c, v98
	v_add_f16_e32 v98, v115, v81
	v_add_f16_e32 v103, v103, v115
	;; [unrolled: 1-line block ×3, first 2 shown]
	v_fmac_f16_e32 v90, 0x34f2, v96
	v_sub_f16_e32 v76, v113, v76
	v_fma_f16 v98, -0.5, v98, v93
	v_fmac_f16_e32 v91, 0x34f2, v96
	v_add_f16_e32 v96, v103, v81
	v_add_f16_e32 v103, v84, v80
	;; [unrolled: 1-line block ×3, first 2 shown]
	v_sub_f16_e32 v66, v66, v105
	v_fmac_f16_e32 v95, 0xb8b4, v101
	v_fmac_f16_e32 v64, 0x38b4, v101
	v_fmamk_f16 v101, v76, 0x3b9c, v98
	v_sub_f16_e32 v82, v86, v82
	v_sub_f16_e32 v105, v80, v81
	v_fmac_f16_e32 v93, -0.5, v103
	v_add_f16_e32 v96, v96, v80
	v_fmac_f16_e32 v98, 0xbb9c, v76
	v_sub_f16_e32 v80, v81, v80
	v_add_f16_e32 v81, v104, v85
	v_fmac_f16_e32 v95, 0x34f2, v100
	v_sub_f16_e32 v86, v84, v115
	v_fmac_f16_e32 v64, 0x34f2, v100
	v_fmac_f16_e32 v101, 0x38b4, v82
	v_fmamk_f16 v100, v82, 0xbb9c, v93
	v_sub_f16_e32 v84, v115, v84
	v_fmac_f16_e32 v98, 0xb8b4, v82
	v_fmac_f16_e32 v93, 0x3b9c, v82
	v_add_f16_e32 v81, v81, v78
	v_add_f16_e32 v82, v78, v92
	;; [unrolled: 1-line block ×3, first 2 shown]
	v_fmac_f16_e32 v100, 0x38b4, v76
	v_add_f16_e32 v80, v84, v80
	v_fmac_f16_e32 v93, 0xb8b4, v76
	v_add_f16_e32 v76, v81, v92
	v_add_f16_e32 v81, v85, v89
	v_fma_f16 v82, -0.5, v82, v104
	v_sub_f16_e32 v84, v88, v94
	v_fmac_f16_e32 v101, 0x34f2, v86
	v_fmac_f16_e32 v98, 0x34f2, v86
	;; [unrolled: 1-line block ×4, first 2 shown]
	v_sub_f16_e32 v80, v83, v99
	v_fmac_f16_e32 v104, -0.5, v81
	v_sub_f16_e32 v81, v85, v78
	v_sub_f16_e32 v86, v89, v92
	v_fmamk_f16 v103, v84, 0xbb9c, v82
	v_fmac_f16_e32 v82, 0x3b9c, v84
	v_fmamk_f16 v105, v80, 0x3b9c, v104
	v_sub_f16_e32 v106, v78, v85
	v_add_f16_e32 v81, v81, v86
	v_fmac_f16_e32 v103, 0xb8b4, v80
	v_fmac_f16_e32 v82, 0x38b4, v80
	v_sub_f16_e32 v86, v92, v89
	v_fmac_f16_e32 v104, 0xbb9c, v80
	v_add_f16_e32 v80, v83, v99
	v_fmac_f16_e32 v103, 0x34f2, v81
	v_fmac_f16_e32 v82, 0x34f2, v81
	v_add_f16_e32 v81, v88, v94
	v_fmac_f16_e32 v105, 0xb8b4, v84
	v_add_f16_e32 v86, v106, v86
	v_fmac_f16_e32 v104, 0x38b4, v84
	v_fma_f16 v80, -0.5, v80, v79
	v_sub_f16_e32 v84, v85, v89
	v_add_f16_e32 v85, v79, v88
	v_sub_f16_e32 v78, v78, v92
	v_fmac_f16_e32 v79, -0.5, v81
	v_add_f16_e32 v76, v76, v89
	v_fmac_f16_e32 v105, 0x34f2, v86
	v_fmac_f16_e32 v104, 0x34f2, v86
	v_fmamk_f16 v81, v84, 0x3b9c, v80
	v_sub_f16_e32 v86, v88, v83
	v_sub_f16_e32 v89, v94, v99
	v_fmamk_f16 v92, v78, 0xbb9c, v79
	v_sub_f16_e32 v88, v83, v88
	v_sub_f16_e32 v106, v99, v94
	v_fmac_f16_e32 v79, 0x3b9c, v78
	v_fmac_f16_e32 v80, 0xbb9c, v84
	v_add_f16_e32 v86, v86, v89
	v_fmac_f16_e32 v81, 0x38b4, v78
	v_add_f16_e32 v88, v88, v106
	v_fmac_f16_e32 v79, 0xb8b4, v84
	v_fmac_f16_e32 v80, 0xb8b4, v78
	;; [unrolled: 1-line block ×3, first 2 shown]
	v_add_f16_e32 v83, v85, v83
	v_fmac_f16_e32 v81, 0x34f2, v86
	v_fmac_f16_e32 v79, 0x34f2, v88
	;; [unrolled: 1-line block ×4, first 2 shown]
	v_add_f16_e32 v78, v83, v99
	v_mul_f16_e32 v83, 0xb8b4, v81
	v_mul_f16_e32 v85, 0xbb9c, v79
	;; [unrolled: 1-line block ×5, first 2 shown]
	v_fmac_f16_e32 v83, 0x3a79, v103
	v_fmac_f16_e32 v85, 0xb4f2, v104
	;; [unrolled: 1-line block ×3, first 2 shown]
	v_mul_f16_e32 v92, 0x34f2, v92
	v_add_f16_e32 v78, v78, v94
	v_add_f16_e32 v89, v90, v83
	;; [unrolled: 1-line block ×3, first 2 shown]
	v_mul_f16_e32 v79, 0xb4f2, v79
	v_mul_f16_e32 v80, 0xba79, v80
	v_fmac_f16_e32 v81, 0x38b4, v103
	v_add_f16_e32 v103, v91, v86
	v_fmac_f16_e32 v92, 0x3b9c, v105
	v_sub_f16_e32 v83, v90, v83
	v_add_f16_e32 v90, v77, v72
	v_sub_f16_e32 v64, v64, v85
	v_sub_f16_e32 v85, v91, v86
	v_add_f16_e32 v86, v57, v107
	v_fmac_f16_e32 v84, 0x34f2, v105
	v_fmac_f16_e32 v79, 0x3b9c, v104
	;; [unrolled: 1-line block ×3, first 2 shown]
	v_add_f16_e32 v82, v96, v78
	v_add_f16_e32 v104, v101, v81
	;; [unrolled: 1-line block ×3, first 2 shown]
	v_fma_f16 v90, -0.5, v90, v57
	v_sub_f16_e32 v91, v74, v87
	v_sub_f16_e32 v96, v96, v78
	;; [unrolled: 1-line block ×6, first 2 shown]
	v_add_f16_e32 v86, v86, v77
	v_add_f16_e32 v101, v107, v73
	;; [unrolled: 1-line block ×3, first 2 shown]
	v_sub_f16_e32 v76, v102, v76
	v_add_f16_e32 v102, v93, v79
	v_sub_f16_e32 v93, v93, v79
	v_fmamk_f16 v79, v91, 0xbb9c, v90
	v_add_f16_e32 v78, v78, v100
	v_sub_f16_e32 v100, v71, v75
	v_add_f16_e32 v86, v86, v72
	v_fmac_f16_e32 v57, -0.5, v101
	v_sub_f16_e32 v101, v77, v107
	v_sub_f16_e32 v106, v72, v73
	v_fmac_f16_e32 v90, 0x3b9c, v91
	v_add_f16_e32 v94, v95, v84
	v_sub_f16_e32 v84, v95, v84
	v_add_f16_e32 v95, v98, v80
	v_sub_f16_e32 v98, v98, v80
	v_fmac_f16_e32 v79, 0xb8b4, v100
	v_add_f16_e32 v80, v86, v73
	v_add_f16_e32 v86, v101, v106
	v_fmamk_f16 v101, v100, 0x3b9c, v57
	v_fmac_f16_e32 v90, 0x38b4, v100
	v_fmac_f16_e32 v57, 0xbb9c, v100
	v_add_f16_e32 v100, v97, v74
	v_add_f16_e32 v106, v71, v75
	v_fmac_f16_e32 v79, 0x34f2, v78
	v_fmac_f16_e32 v90, 0x34f2, v78
	v_sub_f16_e32 v73, v107, v73
	v_add_f16_e32 v100, v100, v71
	v_fmac_f16_e32 v101, 0xb8b4, v91
	v_fma_f16 v106, -0.5, v106, v97
	v_fmac_f16_e32 v57, 0x38b4, v91
	v_sub_f16_e32 v72, v77, v72
	v_add_f16_e32 v78, v100, v75
	v_add_f16_e32 v100, v74, v87
	v_sub_f16_e32 v77, v74, v71
	v_sub_f16_e32 v71, v71, v74
	;; [unrolled: 1-line block ×3, first 2 shown]
	v_fmac_f16_e32 v101, 0x34f2, v86
	v_fmac_f16_e32 v97, -0.5, v100
	v_fmamk_f16 v91, v73, 0x3b9c, v106
	v_sub_f16_e32 v107, v87, v75
	v_fmac_f16_e32 v57, 0x34f2, v86
	v_fmac_f16_e32 v106, 0xbb9c, v73
	v_fmamk_f16 v86, v72, 0xbb9c, v97
	v_add_f16_e32 v75, v0, v15
	v_add_f16_e32 v71, v71, v74
	v_fmac_f16_e32 v97, 0x3b9c, v72
	v_add_f16_e32 v74, v17, v18
	v_fmac_f16_e32 v91, 0x38b4, v72
	;; [unrolled: 2-line block ×3, first 2 shown]
	v_fmac_f16_e32 v86, 0x38b4, v73
	v_add_f16_e32 v72, v75, v17
	v_fmac_f16_e32 v97, 0xb8b4, v73
	v_fma_f16 v73, -0.5, v74, v0
	v_sub_f16_e32 v75, v14, v16
	v_add_f16_e32 v78, v78, v87
	v_fmac_f16_e32 v91, 0x34f2, v77
	v_fmac_f16_e32 v106, 0x34f2, v77
	;; [unrolled: 1-line block ×3, first 2 shown]
	v_add_f16_e32 v74, v15, v70
	v_fmac_f16_e32 v97, 0x34f2, v71
	v_sub_f16_e32 v71, v15, v17
	v_sub_f16_e32 v77, v70, v18
	;; [unrolled: 1-line block ×3, first 2 shown]
	v_fmamk_f16 v107, v75, 0xbb9c, v73
	v_fmac_f16_e32 v73, 0x3b9c, v75
	v_fmac_f16_e32 v0, -0.5, v74
	v_add_f16_e32 v71, v71, v77
	v_add_f16_e32 v72, v72, v18
	v_fmac_f16_e32 v107, 0xb8b4, v87
	v_fmac_f16_e32 v73, 0x38b4, v87
	v_fmamk_f16 v77, v87, 0x3b9c, v0
	v_fmac_f16_e32 v0, 0xbb9c, v87
	v_add_f16_e32 v87, v12, v13
	v_fmac_f16_e32 v107, 0x34f2, v71
	v_fmac_f16_e32 v73, 0x34f2, v71
	v_add_f16_e32 v71, v14, v16
	v_sub_f16_e32 v74, v17, v15
	v_sub_f16_e32 v100, v18, v70
	v_add_f16_e32 v72, v72, v70
	v_fmac_f16_e32 v77, 0xb8b4, v75
	v_fmac_f16_e32 v0, 0x38b4, v75
	v_fma_f16 v75, -0.5, v87, v1
	v_sub_f16_e32 v15, v15, v70
	v_add_f16_e32 v70, v1, v14
	v_sub_f16_e32 v17, v17, v18
	v_fmac_f16_e32 v1, -0.5, v71
	v_add_f16_e32 v74, v74, v100
	v_sub_f16_e32 v18, v14, v12
	v_sub_f16_e32 v14, v12, v14
	;; [unrolled: 1-line block ×3, first 2 shown]
	v_fmamk_f16 v87, v17, 0xbb9c, v1
	v_fmac_f16_e32 v1, 0x3b9c, v17
	v_fmac_f16_e32 v77, 0x34f2, v74
	v_sub_f16_e32 v71, v16, v13
	v_add_f16_e32 v14, v14, v100
	v_fmac_f16_e32 v0, 0x34f2, v74
	v_fmac_f16_e32 v1, 0xb8b4, v15
	v_fmamk_f16 v74, v15, 0x3b9c, v75
	v_fmac_f16_e32 v75, 0xbb9c, v15
	v_add_f16_e32 v18, v18, v71
	v_fmac_f16_e32 v87, 0x38b4, v15
	v_fmac_f16_e32 v1, 0x34f2, v14
	;; [unrolled: 1-line block ×3, first 2 shown]
	v_add_f16_e32 v12, v70, v12
	v_fmac_f16_e32 v75, 0xb8b4, v17
	v_fmac_f16_e32 v87, 0x34f2, v14
	v_mul_f16_e32 v15, 0xbb9c, v1
	v_fmac_f16_e32 v74, 0x34f2, v18
	v_add_f16_e32 v12, v12, v13
	v_fmac_f16_e32 v75, 0x34f2, v18
	v_mul_f16_e32 v1, 0xb4f2, v1
	v_fmac_f16_e32 v15, 0xb4f2, v0
	v_mul_f16_e32 v13, 0xb8b4, v74
	v_add_f16_e32 v12, v12, v16
	v_mul_f16_e32 v16, 0xb8b4, v75
	v_mul_f16_e32 v74, 0x3a79, v74
	v_add_f16_e32 v71, v57, v15
	v_sub_f16_e32 v15, v57, v15
	v_and_b32_e32 v57, 0xffff, v58
	v_and_b32_e32 v58, 0xffff, v61
	v_mul_f16_e32 v14, 0xbb9c, v87
	v_fmac_f16_e32 v16, 0xba79, v73
	v_mul_f16_e32 v87, 0x34f2, v87
	v_mul_f16_e32 v75, 0xba79, v75
	v_fmac_f16_e32 v74, 0x38b4, v107
	v_fmac_f16_e32 v1, 0x3b9c, v0
	v_mul_u32_u24_e32 v57, 0x258, v57
	v_mul_u32_u24_e32 v58, 0x258, v58
	v_fmac_f16_e32 v14, 0x34f2, v77
	v_fmac_f16_e32 v13, 0x3a79, v107
	v_add_f16_e32 v100, v90, v16
	v_fmac_f16_e32 v87, 0x3b9c, v77
	v_fmac_f16_e32 v75, 0x38b4, v73
	v_add_f16_e32 v107, v91, v74
	v_add_f16_e32 v109, v97, v1
	v_sub_f16_e32 v16, v90, v16
	v_sub_f16_e32 v90, v91, v74
	;; [unrolled: 1-line block ×3, first 2 shown]
	v_add3_u32 v91, 0, v57, v59
	v_add3_u32 v97, 0, v58, v60
	v_mul_u32_u24_e32 v57, 0x258, v62
	v_lshlrev_b32_e32 v58, 1, v63
	v_add_f16_e32 v17, v80, v72
	v_add_f16_e32 v70, v101, v14
	v_sub_f16_e32 v72, v80, v72
	v_add_f16_e32 v18, v79, v13
	v_add_f16_e32 v0, v78, v12
	;; [unrolled: 1-line block ×3, first 2 shown]
	v_sub_f16_e32 v13, v79, v13
	v_add_f16_e32 v110, v106, v75
	v_sub_f16_e32 v14, v101, v14
	v_sub_f16_e32 v12, v78, v12
	;; [unrolled: 1-line block ×4, first 2 shown]
	global_wb scope:SCOPE_SE
	s_barrier_signal -1
	s_barrier_wait -1
	global_inv scope:SCOPE_SE
	ds_store_b16 v91, v19
	ds_store_b16 v91, v20 offset:60
	ds_store_b16 v91, v21 offset:120
	;; [unrolled: 1-line block ×9, first 2 shown]
	v_add3_u32 v19, 0, v57, v58
	ds_store_b16 v97, v88
	ds_store_b16 v97, v89 offset:60
	ds_store_b16 v97, v94 offset:120
	;; [unrolled: 1-line block ×9, first 2 shown]
	ds_store_b16 v19, v17
	ds_store_b16 v19, v18 offset:60
	ds_store_b16 v19, v70 offset:120
	;; [unrolled: 1-line block ×9, first 2 shown]
	global_wb scope:SCOPE_SE
	s_wait_dscnt 0x0
	s_barrier_signal -1
	s_barrier_wait -1
	global_inv scope:SCOPE_SE
	ds_load_u16 v20, v51
	ds_load_u16 v63, v51 offset:800
	ds_load_u16 v64, v51 offset:2600
	;; [unrolled: 1-line block ×4, first 2 shown]
	ds_load_u16 v22, v54
	ds_load_u16 v61, v55
	;; [unrolled: 1-line block ×3, first 2 shown]
	ds_load_u16 v57, v51 offset:2400
	ds_load_u16 v72, v51 offset:2200
	ds_load_u16 v65, v51 offset:2000
	ds_load_u16 v74, v51 offset:1600
	ds_load_u16 v67, v51 offset:1400
	ds_load_u16 v73, v51 offset:1000
	ds_load_u16 v76, v51 offset:4000
	ds_load_u16 v69, v51 offset:3800
	ds_load_u16 v58, v51 offset:3600
	ds_load_u16 v77, v51 offset:3400
	ds_load_u16 v70, v51 offset:3200
	ds_load_u16 v56, v51 offset:3000
	ds_load_u16 v75, v51 offset:2800
	ds_load_u16 v66, v51 offset:5600
	ds_load_u16 v55, v51 offset:5400
	ds_load_u16 v79, v51 offset:5200
	ds_load_u16 v71, v51 offset:5000
	ds_load_u16 v59, v51 offset:4800
	ds_load_u16 v78, v51 offset:4600
	ds_load_u16 v60, v53
	ds_load_u16 v23, v52
	ds_load_u16 v80, v51 offset:5800
	global_wb scope:SCOPE_SE
	s_wait_dscnt 0x0
	s_barrier_signal -1
	s_barrier_wait -1
	global_inv scope:SCOPE_SE
	ds_store_b16 v91, v2
	ds_store_b16 v91, v3 offset:60
	ds_store_b16 v91, v4 offset:120
	ds_store_b16 v91, v5 offset:180
	ds_store_b16 v91, v6 offset:240
	ds_store_b16 v91, v7 offset:300
	ds_store_b16 v91, v8 offset:360
	ds_store_b16 v91, v9 offset:420
	ds_store_b16 v91, v10 offset:480
	ds_store_b16 v91, v11 offset:540
	ds_store_b16 v97, v82
	ds_store_b16 v97, v104 offset:60
	ds_store_b16 v97, v105 offset:120
	ds_store_b16 v97, v102 offset:180
	ds_store_b16 v97, v95 offset:240
	ds_store_b16 v97, v96 offset:300
	ds_store_b16 v97, v81 offset:360
	ds_store_b16 v97, v92 offset:420
	ds_store_b16 v97, v93 offset:480
	ds_store_b16 v97, v98 offset:540
	;; [unrolled: 10-line block ×3, first 2 shown]
	global_wb scope:SCOPE_SE
	s_wait_dscnt 0x0
	s_barrier_signal -1
	s_barrier_wait -1
	global_inv scope:SCOPE_SE
	s_and_saveexec_b32 s0, vcc_lo
	s_cbranch_execz .LBB0_15
; %bb.14:
	v_mul_i32_i24_e32 v8, 9, v47
	v_mov_b32_e32 v9, 0
	s_delay_alu instid0(VALU_DEP_1) | instskip(SKIP_1) | instid1(VALU_DEP_1)
	v_lshlrev_b64_e32 v[0:1], 2, v[8:9]
	v_mul_i32_i24_e32 v8, 9, v48
	v_lshlrev_b64_e32 v[8:9], 2, v[8:9]
	s_delay_alu instid0(VALU_DEP_3) | instskip(SKIP_1) | instid1(VALU_DEP_4)
	v_add_co_u32 v10, vcc_lo, s4, v0
	s_wait_alu 0xfffd
	v_add_co_ci_u32_e32 v11, vcc_lo, s5, v1, vcc_lo
	s_clause 0x2
	global_load_b128 v[4:7], v[10:11], off offset:1176
	global_load_b128 v[0:3], v[10:11], off offset:1160
	global_load_b32 v96, v[10:11], off offset:1192
	v_add_co_u32 v8, vcc_lo, s4, v8
	s_wait_alu 0xfffd
	v_add_co_ci_u32_e32 v9, vcc_lo, s5, v9, vcc_lo
	s_clause 0x2
	global_load_b128 v[16:19], v[8:9], off offset:1160
	global_load_b128 v[92:95], v[8:9], off offset:1176
	global_load_b32 v97, v[8:9], off offset:1192
	v_mul_i32_i24_e32 v8, 0xffffffee, v48
	v_mul_u32_u24_e32 v10, 9, v46
	v_mul_i32_i24_e32 v9, 0xffffffee, v47
	ds_load_u16 v47, v51 offset:5800
	ds_load_u16 v48, v51 offset:4000
	;; [unrolled: 1-line block ×16, first 2 shown]
	ds_load_u16 v81, v51
	ds_load_u16 v109, v51 offset:5600
	ds_load_u16 v84, v51 offset:5400
	;; [unrolled: 1-line block ×8, first 2 shown]
	v_add_nc_u32_e32 v8, v49, v8
	v_lshlrev_b32_e32 v49, 2, v10
	v_add_nc_u32_e32 v9, v50, v9
	ds_load_u16 v86, v54
	ds_load_u16 v91, v53
	;; [unrolled: 1-line block ×5, first 2 shown]
	s_clause 0x2
	global_load_b128 v[8:11], v49, s[4:5] offset:1160
	global_load_b128 v[12:15], v49, s[4:5] offset:1176
	global_load_b32 v89, v49, s[4:5] offset:1192
	s_wait_loadcnt 0x8
	v_lshrrev_b32_e32 v49, 16, v7
	v_lshrrev_b32_e32 v52, 16, v5
	s_wait_loadcnt 0x7
	v_lshrrev_b32_e32 v53, 16, v0
	v_lshrrev_b32_e32 v54, 16, v4
	;; [unrolled: 1-line block ×6, first 2 shown]
	s_wait_loadcnt 0x6
	v_lshrrev_b32_e32 v118, 16, v96
	v_mul_f16_e32 v119, v79, v49
	v_mul_f16_e32 v120, v76, v52
	s_wait_dscnt 0xa
	v_mul_f16_e32 v49, v110, v49
	v_mul_f16_e32 v52, v48, v52
	;; [unrolled: 1-line block ×3, first 2 shown]
	s_wait_dscnt 0x7
	v_mul_f16_e32 v122, v114, v112
	v_mul_f16_e32 v54, v77, v54
	;; [unrolled: 1-line block ×13, first 2 shown]
	s_wait_loadcnt 0x5
	v_lshrrev_b32_e32 v128, 16, v16
	v_lshrrev_b32_e32 v129, 16, v17
	;; [unrolled: 1-line block ×4, first 2 shown]
	s_wait_loadcnt 0x4
	v_lshrrev_b32_e32 v132, 16, v92
	v_lshrrev_b32_e32 v133, 16, v93
	;; [unrolled: 1-line block ×4, first 2 shown]
	s_wait_loadcnt 0x3
	v_lshrrev_b32_e32 v136, 16, v97
	v_fma_f16 v110, v7, v110, -v119
	v_fma_f16 v48, v5, v48, -v120
	v_fmac_f16_e32 v49, v79, v7
	v_fmac_f16_e32 v52, v76, v5
	;; [unrolled: 1-line block ×4, first 2 shown]
	v_fma_f16 v4, v4, v99, -v54
	v_fma_f16 v5, v6, v112, -v114
	v_fmac_f16_e32 v126, v80, v96
	v_fma_f16 v6, v96, v47, -v118
	v_fma_f16 v7, v1, v105, -v123
	;; [unrolled: 1-line block ×3, first 2 shown]
	v_fmac_f16_e32 v115, v74, v1
	v_fmac_f16_e32 v117, v75, v3
	v_fmac_f16_e32 v125, v72, v2
	v_fmac_f16_e32 v127, v73, v0
	v_fma_f16 v1, v2, v103, -v116
	v_fma_f16 v0, v0, v107, -v53
	v_mul_f16_e64 v2, v67, v129
	v_mul_f16_e64 v3, v64, v131
	;; [unrolled: 1-line block ×11, first 2 shown]
	s_wait_dscnt 0x6
	v_mul_f16_e64 v79, v134, v113
	v_mul_f16_e64 v80, v128, v108
	;; [unrolled: 1-line block ×7, first 2 shown]
	v_fma_f16 v107, v95, v111, -v53
	v_fma_f16 v98, v93, v98, -v54
	v_fmac_f16_e32 v73, v71, v95
	v_fmac_f16_e32 v75, v69, v93
	v_sub_f16_e32 v53, v7, v47
	v_fmac_f16_e32 v77, v70, v92
	v_sub_f16_e32 v54, v110, v48
	v_fmac_f16_e32 v79, v68, v94
	v_add_f16_e32 v68, v47, v48
	v_fma_f16 v69, v92, v100, -v101
	v_sub_f16_e32 v70, v115, v49
	v_fma_f16 v71, v94, v113, -v103
	v_sub_f16_e32 v93, v125, v121
	v_sub_f16_e32 v94, v126, v122
	;; [unrolled: 1-line block ×3, first 2 shown]
	v_fma_f16 v101, v17, v106, -v2
	v_fma_f16 v102, v19, v102, -v3
	v_sub_f16_e32 v3, v1, v4
	v_fmac_f16_e32 v72, v67, v17
	v_sub_f16_e32 v17, v6, v5
	v_fmac_f16_e32 v74, v64, v19
	v_add_f16_e32 v19, v4, v5
	v_fmac_f16_e32 v76, v65, v18
	v_fmac_f16_e32 v80, v63, v16
	v_fma_f16 v18, v18, v104, -v96
	v_sub_f16_e32 v65, v47, v7
	v_fma_f16 v16, v16, v108, -v105
	v_sub_f16_e32 v67, v48, v110
	v_add_f16_e32 v96, v7, v110
	v_fmac_f16_e32 v78, v66, v97
	v_sub_f16_e32 v66, v4, v1
	v_fma_f16 v97, v97, v109, -v99
	v_sub_f16_e32 v99, v5, v6
	v_add_f16_e32 v106, v1, v6
	s_wait_dscnt 0x1
	v_add_f16_e32 v108, v7, v50
	v_add_f16_e32 v1, v1, v0
	v_sub_f16_e32 v109, v115, v117
	v_sub_f16_e32 v111, v49, v52
	;; [unrolled: 1-line block ×3, first 2 shown]
	v_add_f16_e32 v116, v125, v127
	v_add_f16_e32 v119, v115, v49
	;; [unrolled: 1-line block ×3, first 2 shown]
	v_sub_f16_e32 v92, v117, v52
	v_add_f16_e32 v95, v121, v122
	v_sub_f16_e32 v2, v4, v5
	v_sub_f16_e32 v64, v125, v126
	;; [unrolled: 1-line block ×4, first 2 shown]
	v_add_f16_e32 v112, v117, v52
	v_sub_f16_e32 v118, v52, v49
	v_add_f16_e32 v53, v53, v54
	v_add_f16_e32 v54, v93, v94
	;; [unrolled: 1-line block ×4, first 2 shown]
	v_fma_f16 v67, -0.5, v68, v50
	v_fma_f16 v50, -0.5, v96, v50
	v_add_f16_e32 v66, v66, v99
	v_fma_f16 v19, -0.5, v19, v0
	v_fma_f16 v94, -0.5, v106, v0
	v_add_f16_e32 v0, v47, v108
	v_add_f16_e32 v1, v4, v1
	;; [unrolled: 1-line block ×5, first 2 shown]
	v_sub_f16_e32 v108, v76, v77
	v_sub_f16_e32 v109, v78, v79
	;; [unrolled: 1-line block ×5, first 2 shown]
	v_add_f16_e32 v105, v125, v126
	v_sub_f16_e32 v113, v47, v48
	v_add_f16_e32 v65, v103, v104
	v_fma_f16 v68, -0.5, v95, v127
	v_add_f16_e32 v47, v114, v118
	v_sub_f16_e32 v103, v101, v102
	v_sub_f16_e32 v104, v107, v98
	v_sub_f16_e32 v114, v102, v101
	v_sub_f16_e32 v115, v98, v107
	v_add_f16_e32 v1, v5, v1
	v_add_f16_e32 v5, v96, v52
	;; [unrolled: 1-line block ×4, first 2 shown]
	v_fmamk_f16 v116, v64, 0xbb9c, v19
	v_fmac_f16_e32 v19, 0x3b9c, v64
	v_fma_f16 v93, -0.5, v105, v127
	v_add_f16_e32 v120, v69, v71
	v_add_f16_e32 v52, v103, v104
	v_fmamk_f16 v103, v70, 0xbb9c, v67
	v_add_f16_e32 v104, v114, v115
	v_fmamk_f16 v108, v100, 0x3b9c, v68
	v_fmac_f16_e32 v67, 0x3b9c, v70
	v_fmamk_f16 v115, v63, 0x3b9c, v94
	v_fmac_f16_e32 v94, 0xbb9c, v63
	v_fmac_f16_e32 v68, 0xbb9c, v100
	;; [unrolled: 1-line block ×3, first 2 shown]
	v_sub_f16_e32 v7, v7, v110
	v_fma_f16 v95, -0.5, v112, v62
	v_fma_f16 v62, -0.5, v119, v62
	v_add_f16_e32 v105, v102, v98
	v_sub_f16_e32 v111, v18, v69
	v_sub_f16_e32 v112, v97, v71
	;; [unrolled: 1-line block ×4, first 2 shown]
	v_add_f16_e32 v121, v18, v97
	v_add_f16_e32 v124, v18, v16
	;; [unrolled: 1-line block ×3, first 2 shown]
	v_sub_f16_e64 v128, v76, v78
	v_add_f16_e64 v129, v101, v107
	v_add_f16_e64 v131, v76, v78
	s_wait_dscnt 0x0
	v_add_f16_e64 v132, v101, v51
	v_fmamk_f16 v114, v2, 0xbb9c, v93
	v_fmac_f16_e32 v93, 0x3b9c, v2
	v_fma_f16 v117, -0.5, v120, v16
	v_fmac_f16_e32 v115, 0xb8b4, v64
	v_fmac_f16_e32 v94, 0x38b4, v64
	;; [unrolled: 1-line block ×7, first 2 shown]
	v_sub_f16_e32 v123, v74, v75
	v_sub_f16_e32 v18, v18, v97
	;; [unrolled: 1-line block ×3, first 2 shown]
	v_sub_f16_e64 v130, v77, v79
	v_add_f16_e32 v0, v48, v0
	v_add_f16_e32 v48, v122, v99
	;; [unrolled: 1-line block ×3, first 2 shown]
	v_fmamk_f16 v111, v92, 0x3b9c, v50
	v_fmac_f16_e32 v50, 0xbb9c, v92
	v_add_f16_e32 v112, v118, v119
	v_fma_f16 v118, -0.5, v121, v16
	v_add_f16_e32 v16, v69, v124
	v_fmamk_f16 v69, v113, 0xbb9c, v62
	v_fmac_f16_e32 v62, 0x3b9c, v113
	v_fmamk_f16 v119, v7, 0x3b9c, v95
	v_fmac_f16_e32 v95, 0xbb9c, v7
	v_fma_f16 v105, -0.5, v105, v51
	v_fma_f16 v120, -0.5, v129, v51
	;; [unrolled: 1-line block ×4, first 2 shown]
	v_add_f16_e64 v51, v102, v132
	v_fmac_f16_e32 v114, 0x38b4, v100
	v_fmac_f16_e32 v93, 0xb8b4, v100
	;; [unrolled: 1-line block ×3, first 2 shown]
	v_fma_f16 v92, 0xbb9c, v128, v117
	v_fmac_f16_e32 v115, 0x34f2, v66
	v_fmac_f16_e32 v94, 0x34f2, v66
	;; [unrolled: 1-line block ×6, first 2 shown]
	v_mul_f16_e32 v53, 0x3a79, v19
	v_sub_f16_e32 v106, v72, v73
	v_add_f16_e64 v133, v74, v75
	v_fmac_f16_e32 v111, 0xb8b4, v70
	v_fmac_f16_e32 v50, 0x38b4, v70
	v_add_f16_e32 v2, v110, v0
	v_fmac_f16_e32 v69, 0x38b4, v7
	v_fmac_f16_e32 v62, 0xb8b4, v7
	;; [unrolled: 1-line block ×4, first 2 shown]
	v_add_f16_e32 v7, v71, v16
	v_fmamk_f16 v70, v18, 0x3b9c, v121
	v_fmamk_f16 v100, v123, 0x3b9c, v120
	;; [unrolled: 1-line block ×3, first 2 shown]
	v_fma_f16 v113, 0x3b9c, v130, v118
	v_fmac_f16_e32 v120, 0xbb9c, v123
	v_fmac_f16_e32 v122, 0x3b9c, v127
	v_fmac_f16_e64 v117, 0x3b9c, v128
	v_add_f16_e32 v16, v98, v51
	v_fmac_f16_e32 v114, 0x34f2, v65
	v_fmac_f16_e32 v93, 0x34f2, v65
	;; [unrolled: 1-line block ×3, first 2 shown]
	v_fmac_f16_e64 v92, 0xb8b4, v130
	v_mul_f16_e32 v51, 0x34f2, v94
	v_mul_f16_e32 v54, 0xb8b4, v116
	;; [unrolled: 1-line block ×4, first 2 shown]
	v_fmac_f16_e32 v53, 0x38b4, v68
	v_add_f16_e64 v134, v72, v73
	v_fma_f16 v124, -0.5, v133, v61
	v_add_f16_e32 v1, v6, v1
	v_add_f16_e32 v5, v49, v5
	;; [unrolled: 1-line block ×3, first 2 shown]
	v_fmamk_f16 v71, v106, 0xbb9c, v105
	v_fmac_f16_e64 v118, 0xbb9c, v130
	v_fmac_f16_e32 v105, 0x3b9c, v106
	v_fmac_f16_e32 v121, 0xbb9c, v18
	;; [unrolled: 1-line block ×9, first 2 shown]
	v_fmac_f16_e64 v113, 0xb8b4, v128
	v_fmac_f16_e32 v120, 0x38b4, v106
	v_fmac_f16_e32 v122, 0xb8b4, v18
	v_fmac_f16_e64 v117, 0x38b4, v130
	v_add_f16_e32 v106, v107, v16
	v_mul_f16_e32 v18, 0xba79, v116
	v_mul_f16_e32 v64, 0xbb9c, v94
	v_fmac_f16_e32 v92, 0x34f2, v99
	v_fmac_f16_e32 v51, 0x3b9c, v93
	;; [unrolled: 1-line block ×5, first 2 shown]
	v_sub_f16_e32 v16, v67, v53
	v_add_f16_e32 v53, v67, v53
	v_sub_f16_e32 v67, v101, v107
	v_fmac_f16_e32 v111, 0x34f2, v17
	v_fmac_f16_e32 v62, 0x34f2, v47
	v_sub_f16_e32 v0, v2, v1
	v_add_f16_e32 v47, v2, v1
	v_sub_f16_e32 v1, v5, v6
	v_add_f16_e32 v48, v5, v6
	v_fmac_f16_e64 v118, 0x38b4, v128
	v_fmac_f16_e32 v121, 0xb8b4, v127
	v_fmac_f16_e32 v70, 0x34f2, v96
	;; [unrolled: 1-line block ×6, first 2 shown]
	v_mul_f16_e32 v93, 0xba79, v92
	v_sub_f16_e32 v6, v50, v51
	v_sub_f16_e32 v3, v119, v54
	;; [unrolled: 1-line block ×4, first 2 shown]
	v_add_f16_e32 v50, v50, v51
	v_add_f16_e32 v19, v119, v54
	;; [unrolled: 1-line block ×4, first 2 shown]
	v_sub_f16_e32 v68, v72, v74
	v_sub_f16_e32 v69, v102, v98
	v_fma_f16 v95, -0.5, v134, v61
	v_sub_f16_e32 v98, v73, v75
	v_fmamk_f16 v101, v67, 0x3b9c, v124
	v_mul_f16_e32 v92, 0xb8b4, v92
	v_add_f16_e32 v61, v61, v72
	v_fmac_f16_e32 v105, 0x38b4, v123
	v_fmac_f16_e32 v100, 0x34f2, v104
	v_fmac_f16_e32 v110, 0x34f2, v109
	v_fmac_f16_e32 v120, 0x34f2, v104
	v_fmac_f16_e32 v118, 0x34f2, v112
	v_fmac_f16_e32 v121, 0x34f2, v96
	v_mul_f16_e32 v94, 0xb4f2, v113
	v_mul_f16_e32 v99, 0x3a79, v117
	v_sub_f16_e32 v2, v103, v18
	v_add_f16_e32 v18, v103, v18
	v_fmac_f16_e32 v93, 0x38b4, v70
	v_sub_f16_e32 v102, v74, v72
	v_sub_f16_e32 v103, v75, v73
	v_fmamk_f16 v104, v69, 0xbb9c, v95
	v_add_f16_e32 v68, v68, v98
	v_fmac_f16_e32 v101, 0x38b4, v69
	v_fmac_f16_e32 v95, 0x3b9c, v69
	;; [unrolled: 1-line block ×3, first 2 shown]
	v_add_f16_e32 v70, v76, v80
	v_add_f16_e32 v61, v61, v74
	v_fmac_f16_e32 v71, 0xb8b4, v123
	v_fmac_f16_e32 v122, 0x34f2, v109
	;; [unrolled: 1-line block ×5, first 2 shown]
	v_add_f16_e32 v98, v102, v103
	v_fmac_f16_e32 v104, 0x38b4, v67
	v_fmac_f16_e32 v101, 0x34f2, v68
	;; [unrolled: 1-line block ×4, first 2 shown]
	v_add_f16_e32 v67, v77, v70
	v_mul_f16_e32 v76, 0xbb9c, v118
	v_add_f16_e32 v61, v61, v75
	v_fmac_f16_e32 v71, 0x34f2, v52
	v_mul_f16_e32 v96, 0x34f2, v118
	v_sub_f16_e32 v63, v100, v94
	v_sub_f16_e32 v66, v105, v99
	v_fmac_f16_e32 v95, 0x34f2, v98
	v_fmac_f16_e32 v124, 0xb8b4, v69
	v_add_f16_e32 v67, v79, v67
	v_fmac_f16_e32 v76, 0x34f2, v122
	v_add_f16_e32 v79, v73, v61
	v_sub_f16_e32 v61, v101, v92
	v_add_f16_e32 v73, v100, v94
	v_add_f16_e32 v77, v105, v99
	;; [unrolled: 1-line block ×3, first 2 shown]
	s_wait_loadcnt 0x2
	v_lshrrev_b32_e32 v92, 16, v11
	v_lshrrev_b32_e32 v94, 16, v9
	s_wait_loadcnt 0x1
	v_lshrrev_b32_e32 v99, 16, v15
	v_add_f16_e32 v97, v97, v7
	v_sub_f16_e32 v7, v62, v64
	v_add_f16_e32 v52, v62, v64
	v_fmac_f16_e32 v96, 0x3b9c, v122
	v_sub_f16_e32 v62, v71, v93
	v_fmac_f16_e32 v124, 0x34f2, v68
	v_sub_f16_e32 v68, v95, v76
	v_add_f16_e32 v71, v71, v93
	v_lshrrev_b32_e32 v93, 16, v13
	v_add_f16_e32 v76, v95, v76
	v_mul_f16_e32 v95, v57, v92
	v_mul_f16_e32 v100, v60, v94
	;; [unrolled: 1-line block ×5, first 2 shown]
	v_sub_f16_e32 v64, v120, v96
	v_add_f16_e32 v74, v120, v96
	v_mul_f16_e32 v96, v58, v93
	v_fma_f16 v95, v11, v88, -v95
	v_fma_f16 v91, v9, v91, -v100
	v_fmac_f16_e32 v94, v60, v9
	v_fmac_f16_e32 v101, v59, v15
	v_lshrrev_b32_e32 v9, 16, v10
	v_fma_f16 v15, v15, v90, -v99
	v_lshrrev_b32_e32 v99, 16, v12
	v_mul_f16_e32 v88, v88, v92
	v_lshrrev_b32_e32 v92, 16, v14
	v_sub_f16_e32 v65, v106, v97
	v_mul_f16_e32 v102, 0xbb9c, v113
	v_fmac_f16_e32 v104, 0x34f2, v98
	v_add_f16_e32 v98, v78, v67
	v_add_f16_e32 v78, v106, v97
	v_lshrrev_b32_e32 v97, 16, v8
	v_fma_f16 v96, v13, v82, -v96
	v_mul_f16_e32 v103, v9, v86
	v_fmac_f16_e32 v88, v57, v11
	v_mul_f16_e32 v11, v99, v83
	s_wait_loadcnt 0x0
	v_lshrrev_b32_e32 v57, 16, v89
	v_mul_f16_e32 v82, v82, v93
	v_mul_f16_e32 v93, v92, v85
	v_fmac_f16_e32 v102, 0xb4f2, v110
	v_fmac_f16_e32 v103, v22, v10
	v_fmac_f16_e32 v11, v56, v12
	v_mul_f16_e32 v105, v97, v87
	v_fmac_f16_e32 v93, v21, v14
	v_mul_f16_e32 v9, v22, v9
	v_mul_f16_e32 v22, v55, v57
	v_sub_f16_e32 v67, v104, v102
	v_add_f16_e32 v75, v104, v102
	v_mul_f16_e32 v104, v57, v84
	v_fmac_f16_e32 v82, v58, v13
	v_fmac_f16_e32 v105, v23, v8
	v_mul_f16_e32 v56, v56, v99
	v_add_f16_e32 v58, v11, v93
	v_mul_f16_e32 v21, v21, v92
	v_mul_f16_e32 v23, v23, v97
	v_fma_f16 v9, v10, v86, -v9
	v_fma_f16 v10, v89, v84, -v22
	v_fmac_f16_e32 v104, v55, v89
	v_fma_f16 v12, v12, v83, -v56
	v_fma_f16 v14, v14, v85, -v21
	;; [unrolled: 1-line block ×3, first 2 shown]
	v_fma_f16 v23, -0.5, v58, v105
	v_sub_f16_e32 v55, v9, v10
	v_sub_f16_e32 v13, v103, v11
	;; [unrolled: 1-line block ×3, first 2 shown]
	v_add_f16_e32 v22, v12, v14
	v_sub_f16_e32 v58, v12, v14
	v_fmamk_f16 v57, v55, 0x3b9c, v23
	v_sub_f16_e32 v83, v9, v12
	v_sub_f16_e32 v84, v10, v14
	v_fmac_f16_e32 v23, 0xbb9c, v55
	v_add_f16_e32 v100, v95, v96
	v_add_f16_e32 v13, v13, v21
	v_fma_f16 v21, -0.5, v22, v8
	v_sub_f16_e32 v22, v103, v104
	v_fmac_f16_e32 v57, 0x38b4, v58
	v_add_f16_e32 v83, v83, v84
	v_add_f16_e32 v84, v9, v10
	;; [unrolled: 1-line block ×3, first 2 shown]
	v_fmac_f16_e32 v23, 0xb8b4, v58
	v_sub_f16_e32 v59, v91, v95
	v_fma_f16 v60, -0.5, v100, v81
	v_sub_f16_e32 v100, v15, v96
	v_sub_f16_e32 v56, v88, v82
	v_fmamk_f16 v85, v22, 0xbb9c, v21
	v_sub_f16_e32 v86, v11, v93
	v_fmac_f16_e32 v57, 0x34f2, v13
	v_fma_f16 v84, -0.5, v84, v8
	v_fma_f16 v87, -0.5, v87, v81
	v_fmac_f16_e32 v21, 0x3b9c, v22
	v_fmac_f16_e32 v23, 0x34f2, v13
	v_add_f16_e32 v13, v91, v81
	v_add_f16_e32 v8, v9, v8
	v_sub_f16_e32 v90, v94, v101
	v_add_f16_e32 v59, v59, v100
	v_fmac_f16_e32 v85, 0xb8b4, v86
	v_sub_f16_e32 v97, v12, v9
	v_fmamk_f16 v100, v86, 0x3b9c, v84
	v_fmamk_f16 v109, v56, 0x3b9c, v87
	v_fmac_f16_e32 v84, 0xbb9c, v86
	v_fmac_f16_e32 v87, 0xbb9c, v56
	v_fmac_f16_e32 v21, 0x38b4, v86
	v_add_f16_e32 v13, v95, v13
	v_add_f16_e32 v8, v12, v8
	v_sub_f16_e32 v12, v94, v88
	v_sub_f16_e32 v81, v101, v82
	v_add_f16_e32 v86, v94, v101
	v_fmamk_f16 v102, v90, 0xbb9c, v60
	v_fmac_f16_e32 v85, 0x34f2, v83
	v_sub_f16_e32 v99, v14, v10
	v_sub_f16_e32 v106, v11, v103
	;; [unrolled: 1-line block ×3, first 2 shown]
	v_fmac_f16_e32 v109, 0xb8b4, v90
	v_fmac_f16_e32 v87, 0x38b4, v90
	;; [unrolled: 1-line block ×3, first 2 shown]
	v_add_f16_e32 v13, v96, v13
	v_sub_f16_e32 v90, v95, v96
	v_add_f16_e32 v12, v12, v81
	v_fma_f16 v81, -0.5, v86, v20
	v_add_f16_e32 v97, v97, v99
	v_sub_f16_e32 v99, v96, v15
	v_add_f16_e32 v106, v106, v107
	v_mul_f16_e32 v107, 0xba79, v85
	v_sub_f16_e32 v9, v91, v15
	v_add_f16_e32 v15, v15, v13
	v_add_f16_e32 v8, v14, v8
	v_mul_f16_e32 v14, 0xb8b4, v85
	v_sub_f16_e32 v13, v88, v94
	v_sub_f16_e32 v85, v82, v101
	v_fmamk_f16 v86, v90, 0xbb9c, v81
	v_fmac_f16_e32 v81, 0x3b9c, v90
	v_fmac_f16_e32 v102, 0xb8b4, v56
	;; [unrolled: 1-line block ×3, first 2 shown]
	v_add_f16_e32 v56, v88, v82
	v_add_f16_e32 v89, v103, v104
	v_sub_f16_e32 v92, v95, v91
	v_add_f16_e32 v91, v10, v8
	v_add_f16_e32 v8, v13, v85
	v_fmac_f16_e32 v86, 0x38b4, v9
	v_fmac_f16_e32 v81, 0xb8b4, v9
	v_add_f16_e32 v10, v20, v94
	v_fma_f16 v56, -0.5, v56, v20
	v_add_f16_e32 v13, v103, v105
	v_fma_f16 v89, -0.5, v89, v105
	v_fmac_f16_e32 v86, 0x34f2, v8
	v_fmac_f16_e32 v81, 0x34f2, v8
	v_add_f16_e32 v8, v10, v88
	v_fmac_f16_e32 v21, 0x34f2, v83
	v_fmamk_f16 v83, v9, 0x3b9c, v56
	v_fmac_f16_e32 v56, 0xbb9c, v9
	v_add_f16_e32 v9, v11, v13
	v_mad_co_u64_u32 v[10:11], null, s8, v46, 0
	v_fmamk_f16 v108, v58, 0xbb9c, v89
	v_fmac_f16_e32 v89, 0x3b9c, v58
	v_add_f16_e32 v8, v8, v82
	v_fmac_f16_e32 v100, 0xb8b4, v22
	v_fmac_f16_e32 v84, 0x38b4, v22
	;; [unrolled: 1-line block ×4, first 2 shown]
	v_mul_f16_e32 v55, 0x3a79, v21
	v_fmac_f16_e32 v83, 0x38b4, v90
	v_add_f16_e32 v9, v93, v9
	v_add_f16_e32 v20, v101, v8
	v_mov_b32_e32 v8, v11
	v_fmac_f16_e32 v100, 0x34f2, v97
	v_fmac_f16_e32 v84, 0x34f2, v97
	v_add_f16_e32 v92, v92, v99
	v_fmac_f16_e32 v60, 0x34f2, v59
	v_fmac_f16_e32 v55, 0x38b4, v23
	v_fmac_f16_e32 v83, 0x34f2, v12
	v_fmac_f16_e32 v14, 0xba79, v57
	v_fmac_f16_e32 v56, 0xb8b4, v90
	v_mul_f16_e32 v88, 0xb8b4, v21
	v_add_f16_e32 v21, v104, v9
	v_mad_co_u64_u32 v[8:9], null, s9, v46, v[8:9]
	v_fmac_f16_e32 v108, 0x34f2, v106
	v_fmac_f16_e32 v107, 0x38b4, v57
	v_mul_f16_e32 v57, 0xbb9c, v100
	v_fmac_f16_e32 v89, 0x34f2, v106
	v_mul_f16_e32 v22, 0x34f2, v84
	v_fmac_f16_e32 v102, 0x34f2, v59
	v_fmac_f16_e32 v109, 0x34f2, v92
	v_fmac_f16_e32 v87, 0x34f2, v92
	v_sub_f16_e32 v59, v60, v55
	v_sub_f16_e32 v85, v15, v91
	;; [unrolled: 1-line block ×3, first 2 shown]
	v_fmac_f16_e32 v56, 0x34f2, v12
	v_mad_co_u64_u32 v[12:13], null, s8, v44, 0
	v_add_f16_e32 v55, v60, v55
	v_add_f16_e32 v60, v15, v91
	v_add_f16_e32 v83, v83, v14
	v_mad_co_u64_u32 v[14:15], null, s8, v42, 0
	v_fmac_f16_e32 v57, 0xb4f2, v108
	v_fmac_f16_e32 v22, 0x3b9c, v89
	v_mov_b32_e32 v11, v8
	v_sub_f16_e32 v93, v20, v21
	v_add_co_u32 v8, vcc_lo, s10, v24
	v_sub_f16_e32 v82, v86, v57
	v_add_f16_e32 v57, v86, v57
	v_add_f16_e32 v86, v20, v21
	v_mad_co_u64_u32 v[20:21], null, s9, v44, v[13:14]
	v_sub_f16_e32 v58, v87, v22
	v_add_f16_e32 v46, v87, v22
	v_lshlrev_b64_e32 v[10:11], 2, v[10:11]
	v_mov_b32_e32 v13, v15
	v_mad_co_u64_u32 v[21:22], null, s8, v40, 0
	s_wait_alu 0xfffd
	v_add_co_ci_u32_e32 v9, vcc_lo, s11, v25, vcc_lo
	v_fmac_f16_e32 v88, 0x3a79, v23
	v_mad_co_u64_u32 v[23:24], null, s9, v42, v[13:14]
	v_add_co_u32 v10, vcc_lo, v8, v10
	s_wait_alu 0xfffd
	v_add_co_ci_u32_e32 v11, vcc_lo, v9, v11, vcc_lo
	v_pack_b32_f16 v15, v86, v60
	v_dual_mov_b32 v13, v20 :: v_dual_mov_b32 v20, v22
	v_mul_f16_e32 v84, 0xbb9c, v84
	v_add_f16_e32 v42, v56, v88
	global_store_b32 v[10:11], v15, off
	v_lshlrev_b64_e32 v[10:11], 2, v[12:13]
	v_mov_b32_e32 v15, v23
	v_mad_co_u64_u32 v[12:13], null, s9, v40, v[20:21]
	v_mad_co_u64_u32 v[23:24], null, s8, v45, 0
	s_delay_alu instid0(VALU_DEP_3)
	v_lshlrev_b64_e32 v[13:14], 2, v[14:15]
	v_mul_f16_e32 v99, 0xb4f2, v100
	v_fmac_f16_e32 v84, 0x34f2, v89
	v_sub_f16_e32 v90, v56, v88
	v_add_co_u32 v10, vcc_lo, v8, v10
	v_pack_b32_f16 v40, v42, v55
	v_mov_b32_e32 v22, v12
	v_mad_co_u64_u32 v[55:56], null, s8, v43, 0
	s_wait_alu 0xfffd
	v_add_co_ci_u32_e32 v11, vcc_lo, v9, v11, vcc_lo
	v_fmac_f16_e32 v99, 0x3b9c, v108
	v_add_f16_e32 v25, v81, v84
	v_mov_b32_e32 v12, v24
	v_add_co_u32 v13, vcc_lo, v8, v13
	v_lshlrev_b64_e32 v[20:21], 2, v[21:22]
	v_add_f16_e32 v95, v109, v99
	v_pack_b32_f16 v15, v25, v46
	s_delay_alu instid0(VALU_DEP_4)
	v_mad_co_u64_u32 v[24:25], null, s9, v45, v[12:13]
	v_mov_b32_e32 v12, v56
	s_wait_alu 0xfffd
	v_add_co_ci_u32_e32 v14, vcc_lo, v9, v14, vcc_lo
	v_mad_co_u64_u32 v[44:45], null, s8, v41, 0
	v_add_co_u32 v20, vcc_lo, v8, v20
	s_wait_alu 0xfffd
	v_add_co_ci_u32_e32 v21, vcc_lo, v9, v21, vcc_lo
	v_mad_co_u64_u32 v[42:43], null, s9, v43, v[12:13]
	v_pack_b32_f16 v12, v57, v95
	s_clause 0x1
	global_store_b32 v[10:11], v40, off
	global_store_b32 v[13:14], v15, off
	v_mov_b32_e32 v10, v45
	v_add_f16_e32 v94, v102, v107
	v_pack_b32_f16 v46, v93, v85
	global_store_b32 v[20:21], v12, off
	v_lshlrev_b64_e32 v[11:12], 2, v[23:24]
	v_mad_co_u64_u32 v[22:23], null, s8, v38, 0
	v_pack_b32_f16 v43, v83, v94
	v_sub_f16_e32 v89, v81, v84
	v_sub_f16_e32 v110, v109, v99
	v_mad_co_u64_u32 v[13:14], null, s9, v41, v[10:11]
	v_mad_co_u64_u32 v[14:15], null, s8, v39, 0
	v_add_co_u32 v10, vcc_lo, v8, v11
	s_wait_alu 0xfffd
	v_add_co_ci_u32_e32 v11, vcc_lo, v9, v12, vcc_lo
	s_delay_alu instid0(VALU_DEP_4) | instskip(NEXT) | instid1(VALU_DEP_4)
	v_dual_mov_b32 v56, v42 :: v_dual_mov_b32 v45, v13
	v_mov_b32_e32 v12, v15
	v_sub_f16_e32 v70, v79, v98
	v_add_f16_e32 v79, v79, v98
	s_delay_alu instid0(VALU_DEP_4)
	v_lshlrev_b64_e32 v[20:21], 2, v[55:56]
	v_lshlrev_b64_e32 v[24:25], 2, v[44:45]
	v_mad_co_u64_u32 v[12:13], null, s9, v39, v[12:13]
	v_mov_b32_e32 v13, v23
	v_mad_co_u64_u32 v[39:40], null, s8, v37, 0
	v_add_co_u32 v20, vcc_lo, v8, v20
	s_wait_alu 0xfffd
	v_add_co_ci_u32_e32 v21, vcc_lo, v9, v21, vcc_lo
	v_mov_b32_e32 v15, v12
	v_add_co_u32 v23, vcc_lo, v8, v24
	s_clause 0x1
	global_store_b32 v[10:11], v43, off
	global_store_b32 v[20:21], v46, off
	v_mov_b32_e32 v10, v40
	v_lshlrev_b64_e32 v[11:12], 2, v[14:15]
	s_wait_alu 0xfffd
	v_add_co_ci_u32_e32 v24, vcc_lo, v9, v25, vcc_lo
	v_mad_co_u64_u32 v[41:42], null, s9, v38, v[13:14]
	v_pack_b32_f16 v13, v90, v59
	v_mad_co_u64_u32 v[20:21], null, s8, v34, 0
	v_sub_f16_e32 v98, v102, v107
	v_pack_b32_f16 v25, v89, v58
	global_store_b32 v[23:24], v13, off
	v_mad_co_u64_u32 v[13:14], null, s9, v37, v[10:11]
	v_mov_b32_e32 v23, v41
	v_add_co_u32 v10, vcc_lo, v8, v11
	s_wait_alu 0xfffd
	v_add_co_ci_u32_e32 v11, vcc_lo, v9, v12, vcc_lo
	v_pack_b32_f16 v41, v82, v110
	v_mov_b32_e32 v40, v13
	v_lshlrev_b64_e32 v[14:15], 2, v[22:23]
	v_mad_co_u64_u32 v[23:24], null, s8, v32, 0
	v_mul_f16_e32 v80, 0xb8b4, v117
	v_mul_f16_e32 v49, 0xb4f2, v115
	v_pack_b32_f16 v2, v3, v2
	v_add_co_u32 v12, vcc_lo, v8, v14
	v_mov_b32_e32 v14, v21
	s_wait_alu 0xfffd
	v_add_co_ci_u32_e32 v13, vcc_lo, v9, v15, vcc_lo
	v_lshlrev_b64_e32 v[21:22], 2, v[39:40]
	v_mad_co_u64_u32 v[39:40], null, s8, v31, 0
	v_mad_co_u64_u32 v[14:15], null, s9, v34, v[14:15]
	v_mov_b32_e32 v15, v24
	s_delay_alu instid0(VALU_DEP_4)
	v_add_co_u32 v37, vcc_lo, v8, v21
	s_wait_alu 0xfffd
	v_add_co_ci_u32_e32 v38, vcc_lo, v9, v22, vcc_lo
	v_pack_b32_f16 v22, v92, v98
	v_mov_b32_e32 v21, v14
	v_mad_co_u64_u32 v[14:15], null, s9, v32, v[15:16]
	s_clause 0x2
	global_store_b32 v[10:11], v25, off
	global_store_b32 v[12:13], v41, off
	;; [unrolled: 1-line block ×3, first 2 shown]
	v_mov_b32_e32 v12, v40
	v_lshlrev_b64_e32 v[10:11], 2, v[20:21]
	v_mad_co_u64_u32 v[20:21], null, s8, v36, 0
	v_fmac_f16_e32 v80, 0x3a79, v121
	v_mov_b32_e32 v24, v14
	v_mad_co_u64_u32 v[12:13], null, s9, v31, v[12:13]
	v_add_co_u32 v10, vcc_lo, v8, v10
	v_mov_b32_e32 v13, v21
	s_delay_alu instid0(VALU_DEP_4) | instskip(SKIP_4) | instid1(VALU_DEP_4)
	v_lshlrev_b64_e32 v[14:15], 2, v[23:24]
	v_mad_co_u64_u32 v[22:23], null, s8, v35, 0
	v_mov_b32_e32 v40, v12
	s_wait_alu 0xfffd
	v_add_co_ci_u32_e32 v11, vcc_lo, v9, v11, vcc_lo
	v_mad_co_u64_u32 v[12:13], null, s9, v36, v[13:14]
	v_add_co_u32 v13, vcc_lo, v8, v14
	v_mad_co_u64_u32 v[31:32], null, s8, v33, 0
	v_sub_f16_e32 v69, v124, v80
	v_add_f16_e32 v80, v124, v80
	v_dual_mov_b32 v21, v12 :: v_dual_mov_b32 v12, v23
	v_lshlrev_b64_e32 v[24:25], 2, v[39:40]
	s_wait_alu 0xfffd
	v_add_co_ci_u32_e32 v14, vcc_lo, v9, v15, vcc_lo
	s_delay_alu instid0(VALU_DEP_3) | instskip(SKIP_1) | instid1(VALU_DEP_4)
	v_lshlrev_b64_e32 v[20:21], 2, v[20:21]
	v_mad_co_u64_u32 v[34:35], null, s9, v35, v[12:13]
	v_add_co_u32 v24, vcc_lo, v8, v24
	v_pack_b32_f16 v37, v79, v78
	s_wait_alu 0xfffd
	v_add_co_ci_u32_e32 v25, vcc_lo, v9, v25, vcc_lo
	v_mov_b32_e32 v12, v32
	v_mad_co_u64_u32 v[35:36], null, s8, v30, 0
	v_pack_b32_f16 v15, v80, v77
	v_add_co_u32 v20, vcc_lo, v8, v20
	v_pack_b32_f16 v38, v76, v74
	s_wait_alu 0xfffd
	v_add_co_ci_u32_e32 v21, vcc_lo, v9, v21, vcc_lo
	v_pack_b32_f16 v39, v75, v73
	v_mov_b32_e32 v23, v34
	v_mad_co_u64_u32 v[32:33], null, s9, v33, v[12:13]
	s_clause 0x3
	global_store_b32 v[10:11], v37, off
	global_store_b32 v[13:14], v15, off
	;; [unrolled: 1-line block ×4, first 2 shown]
	v_mad_co_u64_u32 v[13:14], null, s8, v29, 0
	v_mov_b32_e32 v12, v36
	v_lshlrev_b64_e32 v[10:11], 2, v[22:23]
	v_pack_b32_f16 v25, v72, v71
	v_lshlrev_b64_e32 v[20:21], 2, v[31:32]
	v_fmac_f16_e32 v49, 0x3b9c, v114
	v_mad_co_u64_u32 v[22:23], null, s9, v30, v[12:13]
	v_mad_co_u64_u32 v[23:24], null, s8, v28, 0
	v_add_co_u32 v10, vcc_lo, v8, v10
	s_wait_alu 0xfffd
	v_add_co_ci_u32_e32 v11, vcc_lo, v9, v11, vcc_lo
	v_mov_b32_e32 v12, v14
	v_add_co_u32 v14, vcc_lo, v8, v20
	global_store_b32 v[10:11], v25, off
	v_mov_b32_e32 v10, v24
	v_mul_hi_u32 v24, 0x1b4e81b5, v26
	s_wait_alu 0xfffd
	v_add_co_ci_u32_e32 v15, vcc_lo, v9, v21, vcc_lo
	v_mad_co_u64_u32 v[20:21], null, s9, v29, v[12:13]
	v_pack_b32_f16 v12, v70, v65
	v_mov_b32_e32 v36, v22
	v_pack_b32_f16 v30, v67, v63
	v_sub_f16_e32 v4, v111, v49
	v_add_f16_e32 v49, v111, v49
	global_store_b32 v[14:15], v12, off
	v_lshlrev_b64_e32 v[11:12], 2, v[35:36]
	v_lshrrev_b32_e32 v15, 5, v24
	s_delay_alu instid0(VALU_DEP_1) | instskip(SKIP_1) | instid1(VALU_DEP_4)
	v_mad_u32_u24 v29, 0xa8c, v15, v26
	v_mov_b32_e32 v14, v20
	v_mad_co_u64_u32 v[20:21], null, s9, v28, v[10:11]
	v_mad_co_u64_u32 v[21:22], null, s8, v27, 0
	v_add_co_u32 v10, vcc_lo, v8, v11
	s_wait_alu 0xfffd
	v_add_co_ci_u32_e32 v11, vcc_lo, v9, v12, vcc_lo
	s_delay_alu instid0(VALU_DEP_4) | instskip(SKIP_3) | instid1(VALU_DEP_4)
	v_mov_b32_e32 v24, v20
	v_lshlrev_b64_e32 v[12:13], 2, v[13:14]
	v_mad_co_u64_u32 v[25:26], null, s8, v29, 0
	v_mov_b32_e32 v14, v22
	v_lshlrev_b64_e32 v[22:23], 2, v[23:24]
	v_pack_b32_f16 v28, v69, v66
	v_add_co_u32 v12, vcc_lo, v8, v12
	s_delay_alu instid0(VALU_DEP_4)
	v_mad_co_u64_u32 v[14:15], null, s9, v27, v[14:15]
	s_wait_alu 0xfffd
	v_add_co_ci_u32_e32 v13, vcc_lo, v9, v13, vcc_lo
	v_mov_b32_e32 v15, v26
	v_add_co_u32 v26, vcc_lo, v8, v22
	v_pack_b32_f16 v20, v68, v64
	s_wait_alu 0xfffd
	v_add_co_ci_u32_e32 v27, vcc_lo, v9, v23, vcc_lo
	v_mad_co_u64_u32 v[23:24], null, s9, v29, v[15:16]
	s_clause 0x2
	global_store_b32 v[10:11], v28, off
	global_store_b32 v[12:13], v20, off
	;; [unrolled: 1-line block ×3, first 2 shown]
	v_add_nc_u32_e32 v24, 0x12c, v29
	v_dual_mov_b32 v22, v14 :: v_dual_add_nc_u32 v27, 0x258, v29
	v_add_nc_u32_e32 v30, 0x384, v29
	v_pack_b32_f16 v28, v61, v62
	s_delay_alu instid0(VALU_DEP_4) | instskip(NEXT) | instid1(VALU_DEP_4)
	v_mad_co_u64_u32 v[12:13], null, s8, v24, 0
	v_mad_co_u64_u32 v[14:15], null, s8, v27, 0
	v_mov_b32_e32 v26, v23
	v_lshlrev_b64_e32 v[10:11], 2, v[21:22]
	v_mad_co_u64_u32 v[22:23], null, s8, v30, 0
	s_delay_alu instid0(VALU_DEP_3)
	v_lshlrev_b64_e32 v[20:21], 2, v[25:26]
	v_mad_co_u64_u32 v[24:25], null, s9, v24, v[13:14]
	v_mad_co_u64_u32 v[25:26], null, s9, v27, v[15:16]
	v_add_co_u32 v10, vcc_lo, v8, v10
	s_wait_alu 0xfffd
	v_add_co_ci_u32_e32 v11, vcc_lo, v9, v11, vcc_lo
	s_delay_alu instid0(VALU_DEP_4)
	v_mov_b32_e32 v13, v24
	v_mad_co_u64_u32 v[23:24], null, s9, v30, v[23:24]
	v_dual_mov_b32 v15, v25 :: v_dual_add_nc_u32 v24, 0x4b0, v29
	v_add_co_u32 v20, vcc_lo, v8, v20
	global_store_b32 v[10:11], v28, off
	v_lshlrev_b64_e32 v[10:11], 2, v[12:13]
	s_wait_alu 0xfffd
	v_add_co_ci_u32_e32 v21, vcc_lo, v9, v21, vcc_lo
	v_pack_b32_f16 v26, v48, v47
	v_lshlrev_b64_e32 v[12:13], 2, v[14:15]
	v_mad_co_u64_u32 v[14:15], null, s8, v24, 0
	v_add_co_u32 v10, vcc_lo, v8, v10
	global_store_b32 v[20:21], v26, off
	v_lshlrev_b64_e32 v[20:21], 2, v[22:23]
	s_wait_alu 0xfffd
	v_add_co_ci_u32_e32 v11, vcc_lo, v9, v11, vcc_lo
	v_add_co_u32 v12, vcc_lo, v8, v12
	s_wait_alu 0xfffd
	v_add_co_ci_u32_e32 v13, vcc_lo, v9, v13, vcc_lo
	v_mad_co_u64_u32 v[22:23], null, s9, v24, v[15:16]
	v_add_co_u32 v20, vcc_lo, v8, v20
	v_pack_b32_f16 v25, v54, v53
	v_pack_b32_f16 v23, v52, v50
	s_wait_alu 0xfffd
	v_add_co_ci_u32_e32 v21, vcc_lo, v9, v21, vcc_lo
	v_pack_b32_f16 v24, v51, v49
	global_store_b32 v[10:11], v25, off
	v_mov_b32_e32 v15, v22
	global_store_b32 v[12:13], v23, off
	v_add_nc_u32_e32 v22, 0x5dc, v29
	global_store_b32 v[20:21], v24, off
	v_add_nc_u32_e32 v24, 0x708, v29
	v_add_nc_u32_e32 v25, 0x834, v29
	v_lshlrev_b64_e32 v[10:11], 2, v[14:15]
	v_mad_co_u64_u32 v[12:13], null, s8, v22, 0
	s_delay_alu instid0(VALU_DEP_4) | instskip(NEXT) | instid1(VALU_DEP_4)
	v_mad_co_u64_u32 v[14:15], null, s8, v24, 0
	v_mad_co_u64_u32 v[20:21], null, s8, v25, 0
	v_add_nc_u32_e32 v27, 0x960, v29
	v_pack_b32_f16 v26, v19, v18
	v_add_co_u32 v10, vcc_lo, v8, v10
	v_mad_co_u64_u32 v[22:23], null, s9, v22, v[13:14]
	v_mad_co_u64_u32 v[18:19], null, s9, v24, v[15:16]
	v_mov_b32_e32 v15, v21
	v_mad_co_u64_u32 v[23:24], null, s8, v27, 0
	s_wait_alu 0xfffd
	v_add_co_ci_u32_e32 v11, vcc_lo, v9, v11, vcc_lo
	v_mov_b32_e32 v13, v22
	v_mad_co_u64_u32 v[21:22], null, s9, v25, v[15:16]
	v_add_nc_u32_e32 v22, 0xa8c, v29
	global_store_b32 v[10:11], v26, off
	v_lshlrev_b64_e32 v[10:11], 2, v[12:13]
	v_dual_mov_b32 v15, v18 :: v_dual_mov_b32 v12, v24
	v_mad_co_u64_u32 v[18:19], null, s8, v22, 0
	v_pack_b32_f16 v25, v1, v0
	s_delay_alu instid0(VALU_DEP_3) | instskip(NEXT) | instid1(VALU_DEP_4)
	v_lshlrev_b64_e32 v[0:1], 2, v[14:15]
	v_mad_co_u64_u32 v[12:13], null, s9, v27, v[12:13]
	v_lshlrev_b64_e32 v[14:15], 2, v[20:21]
	v_add_co_u32 v10, vcc_lo, v8, v10
	v_mov_b32_e32 v13, v19
	s_wait_alu 0xfffd
	v_add_co_ci_u32_e32 v11, vcc_lo, v9, v11, vcc_lo
	v_mov_b32_e32 v24, v12
	v_add_co_u32 v0, vcc_lo, v8, v0
	v_mad_co_u64_u32 v[19:20], null, s9, v22, v[13:14]
	s_delay_alu instid0(VALU_DEP_3)
	v_lshlrev_b64_e32 v[12:13], 2, v[23:24]
	s_wait_alu 0xfffd
	v_add_co_ci_u32_e32 v1, vcc_lo, v9, v1, vcc_lo
	v_pack_b32_f16 v16, v17, v16
	v_add_co_u32 v14, vcc_lo, v8, v14
	v_pack_b32_f16 v17, v7, v6
	v_lshlrev_b64_e32 v[6:7], 2, v[18:19]
	s_wait_alu 0xfffd
	v_add_co_ci_u32_e32 v15, vcc_lo, v9, v15, vcc_lo
	v_add_co_u32 v12, vcc_lo, v8, v12
	s_wait_alu 0xfffd
	v_add_co_ci_u32_e32 v13, vcc_lo, v9, v13, vcc_lo
	v_pack_b32_f16 v18, v5, v4
	v_add_co_u32 v4, vcc_lo, v8, v6
	s_wait_alu 0xfffd
	v_add_co_ci_u32_e32 v5, vcc_lo, v9, v7, vcc_lo
	s_clause 0x4
	global_store_b32 v[10:11], v25, off
	global_store_b32 v[0:1], v16, off
	;; [unrolled: 1-line block ×5, first 2 shown]
.LBB0_15:
	s_nop 0
	s_sendmsg sendmsg(MSG_DEALLOC_VGPRS)
	s_endpgm
	.section	.rodata,"a",@progbits
	.p2align	6, 0x0
	.amdhsa_kernel fft_rtc_back_len3000_factors_10_3_10_10_wgs_100_tpt_100_halfLds_half_ip_CI_sbrr_dirReg
		.amdhsa_group_segment_fixed_size 0
		.amdhsa_private_segment_fixed_size 0
		.amdhsa_kernarg_size 88
		.amdhsa_user_sgpr_count 2
		.amdhsa_user_sgpr_dispatch_ptr 0
		.amdhsa_user_sgpr_queue_ptr 0
		.amdhsa_user_sgpr_kernarg_segment_ptr 1
		.amdhsa_user_sgpr_dispatch_id 0
		.amdhsa_user_sgpr_private_segment_size 0
		.amdhsa_wavefront_size32 1
		.amdhsa_uses_dynamic_stack 0
		.amdhsa_enable_private_segment 0
		.amdhsa_system_sgpr_workgroup_id_x 1
		.amdhsa_system_sgpr_workgroup_id_y 0
		.amdhsa_system_sgpr_workgroup_id_z 0
		.amdhsa_system_sgpr_workgroup_info 0
		.amdhsa_system_vgpr_workitem_id 0
		.amdhsa_next_free_vgpr 137
		.amdhsa_next_free_sgpr 35
		.amdhsa_reserve_vcc 1
		.amdhsa_float_round_mode_32 0
		.amdhsa_float_round_mode_16_64 0
		.amdhsa_float_denorm_mode_32 3
		.amdhsa_float_denorm_mode_16_64 3
		.amdhsa_fp16_overflow 0
		.amdhsa_workgroup_processor_mode 1
		.amdhsa_memory_ordered 1
		.amdhsa_forward_progress 0
		.amdhsa_round_robin_scheduling 0
		.amdhsa_exception_fp_ieee_invalid_op 0
		.amdhsa_exception_fp_denorm_src 0
		.amdhsa_exception_fp_ieee_div_zero 0
		.amdhsa_exception_fp_ieee_overflow 0
		.amdhsa_exception_fp_ieee_underflow 0
		.amdhsa_exception_fp_ieee_inexact 0
		.amdhsa_exception_int_div_zero 0
	.end_amdhsa_kernel
	.text
.Lfunc_end0:
	.size	fft_rtc_back_len3000_factors_10_3_10_10_wgs_100_tpt_100_halfLds_half_ip_CI_sbrr_dirReg, .Lfunc_end0-fft_rtc_back_len3000_factors_10_3_10_10_wgs_100_tpt_100_halfLds_half_ip_CI_sbrr_dirReg
                                        ; -- End function
	.section	.AMDGPU.csdata,"",@progbits
; Kernel info:
; codeLenInByte = 21388
; NumSgprs: 37
; NumVgprs: 137
; ScratchSize: 0
; MemoryBound: 0
; FloatMode: 240
; IeeeMode: 1
; LDSByteSize: 0 bytes/workgroup (compile time only)
; SGPRBlocks: 4
; VGPRBlocks: 17
; NumSGPRsForWavesPerEU: 37
; NumVGPRsForWavesPerEU: 137
; Occupancy: 10
; WaveLimiterHint : 1
; COMPUTE_PGM_RSRC2:SCRATCH_EN: 0
; COMPUTE_PGM_RSRC2:USER_SGPR: 2
; COMPUTE_PGM_RSRC2:TRAP_HANDLER: 0
; COMPUTE_PGM_RSRC2:TGID_X_EN: 1
; COMPUTE_PGM_RSRC2:TGID_Y_EN: 0
; COMPUTE_PGM_RSRC2:TGID_Z_EN: 0
; COMPUTE_PGM_RSRC2:TIDIG_COMP_CNT: 0
	.text
	.p2alignl 7, 3214868480
	.fill 96, 4, 3214868480
	.type	__hip_cuid_3a1ad59c1188e745,@object ; @__hip_cuid_3a1ad59c1188e745
	.section	.bss,"aw",@nobits
	.globl	__hip_cuid_3a1ad59c1188e745
__hip_cuid_3a1ad59c1188e745:
	.byte	0                               ; 0x0
	.size	__hip_cuid_3a1ad59c1188e745, 1

	.ident	"AMD clang version 19.0.0git (https://github.com/RadeonOpenCompute/llvm-project roc-6.4.0 25133 c7fe45cf4b819c5991fe208aaa96edf142730f1d)"
	.section	".note.GNU-stack","",@progbits
	.addrsig
	.addrsig_sym __hip_cuid_3a1ad59c1188e745
	.amdgpu_metadata
---
amdhsa.kernels:
  - .args:
      - .actual_access:  read_only
        .address_space:  global
        .offset:         0
        .size:           8
        .value_kind:     global_buffer
      - .offset:         8
        .size:           8
        .value_kind:     by_value
      - .actual_access:  read_only
        .address_space:  global
        .offset:         16
        .size:           8
        .value_kind:     global_buffer
      - .actual_access:  read_only
        .address_space:  global
        .offset:         24
        .size:           8
        .value_kind:     global_buffer
      - .offset:         32
        .size:           8
        .value_kind:     by_value
      - .actual_access:  read_only
        .address_space:  global
        .offset:         40
        .size:           8
        .value_kind:     global_buffer
      - .actual_access:  read_only
        .address_space:  global
        .offset:         48
        .size:           8
        .value_kind:     global_buffer
      - .offset:         56
        .size:           4
        .value_kind:     by_value
      - .actual_access:  read_only
        .address_space:  global
        .offset:         64
        .size:           8
        .value_kind:     global_buffer
      - .actual_access:  read_only
        .address_space:  global
        .offset:         72
        .size:           8
        .value_kind:     global_buffer
      - .address_space:  global
        .offset:         80
        .size:           8
        .value_kind:     global_buffer
    .group_segment_fixed_size: 0
    .kernarg_segment_align: 8
    .kernarg_segment_size: 88
    .language:       OpenCL C
    .language_version:
      - 2
      - 0
    .max_flat_workgroup_size: 100
    .name:           fft_rtc_back_len3000_factors_10_3_10_10_wgs_100_tpt_100_halfLds_half_ip_CI_sbrr_dirReg
    .private_segment_fixed_size: 0
    .sgpr_count:     37
    .sgpr_spill_count: 0
    .symbol:         fft_rtc_back_len3000_factors_10_3_10_10_wgs_100_tpt_100_halfLds_half_ip_CI_sbrr_dirReg.kd
    .uniform_work_group_size: 1
    .uses_dynamic_stack: false
    .vgpr_count:     137
    .vgpr_spill_count: 0
    .wavefront_size: 32
    .workgroup_processor_mode: 1
amdhsa.target:   amdgcn-amd-amdhsa--gfx1201
amdhsa.version:
  - 1
  - 2
...

	.end_amdgpu_metadata
